;; amdgpu-corpus repo=ROCm/rocFFT kind=compiled arch=gfx906 opt=O3
	.text
	.amdgcn_target "amdgcn-amd-amdhsa--gfx906"
	.amdhsa_code_object_version 6
	.protected	bluestein_single_back_len255_dim1_dp_op_CI_CI ; -- Begin function bluestein_single_back_len255_dim1_dp_op_CI_CI
	.globl	bluestein_single_back_len255_dim1_dp_op_CI_CI
	.p2align	8
	.type	bluestein_single_back_len255_dim1_dp_op_CI_CI,@function
bluestein_single_back_len255_dim1_dp_op_CI_CI: ; @bluestein_single_back_len255_dim1_dp_op_CI_CI
; %bb.0:
	s_mov_b64 s[62:63], s[2:3]
	v_mul_u32_u24_e32 v1, 0xf10, v0
	s_mov_b64 s[60:61], s[0:1]
	s_load_dwordx4 s[0:3], s[4:5], 0x28
	v_lshrrev_b32_e32 v1, 16, v1
	s_add_u32 s60, s60, s7
	v_mad_u64_u32 v[176:177], s[6:7], s6, 3, v[1:2]
	v_mov_b32_e32 v177, 0
	s_addc_u32 s61, s61, 0
	s_waitcnt lgkmcnt(0)
	v_cmp_gt_u64_e32 vcc, s[0:1], v[176:177]
	s_and_saveexec_b64 s[0:1], vcc
	s_cbranch_execz .LBB0_15
; %bb.1:
	s_mov_b32 s0, 0xaaaaaaab
	v_mul_hi_u32 v2, v176, s0
	v_mul_lo_u16_e32 v1, 17, v1
	s_load_dwordx2 s[12:13], s[4:5], 0x0
	s_load_dwordx2 s[14:15], s[4:5], 0x38
	v_sub_u16_e32 v246, v0, v1
	v_lshrrev_b32_e32 v0, 1, v2
	v_lshl_add_u32 v0, v0, 1, v0
	v_sub_u32_e32 v0, v176, v0
	v_mul_u32_u24_e32 v247, 0xff, v0
	v_cmp_gt_u16_e32 vcc, 15, v246
	v_lshlrev_b32_e32 v248, 4, v246
	v_lshlrev_b32_e32 v255, 4, v247
	s_and_saveexec_b64 s[6:7], vcc
	s_cbranch_execz .LBB0_3
; %bb.2:
	s_load_dwordx2 s[0:1], s[4:5], 0x18
	v_or_b32_e32 v121, 0xf0, v246
	s_waitcnt lgkmcnt(0)
	s_load_dwordx4 s[8:11], s[0:1], 0x0
	s_waitcnt lgkmcnt(0)
	v_mad_u64_u32 v[0:1], s[0:1], s10, v176, 0
	v_mad_u64_u32 v[2:3], s[0:1], s8, v246, 0
	;; [unrolled: 1-line block ×4, first 2 shown]
	v_mov_b32_e32 v1, v4
	v_lshlrev_b64 v[0:1], 4, v[0:1]
	v_mov_b32_e32 v3, v5
	v_mov_b32_e32 v6, s3
	v_lshlrev_b64 v[2:3], 4, v[2:3]
	v_add_co_u32_e64 v16, s[0:1], s2, v0
	v_addc_co_u32_e64 v17, s[0:1], v6, v1, s[0:1]
	v_add_co_u32_e64 v18, s[0:1], v16, v2
	v_addc_co_u32_e64 v19, s[0:1], v17, v3, s[0:1]
	s_mul_i32 s0, s9, 0xf0
	s_mul_hi_u32 s3, s8, 0xf0
	s_add_i32 s3, s3, s0
	s_mul_i32 s2, s8, 0xf0
	v_mov_b32_e32 v0, s3
	v_add_co_u32_e64 v20, s[0:1], s2, v18
	v_addc_co_u32_e64 v21, s[0:1], v19, v0, s[0:1]
	global_load_dwordx4 v[0:3], v[18:19], off
	global_load_dwordx4 v[4:7], v[20:21], off
	global_load_dwordx4 v[8:11], v248, s[12:13]
	global_load_dwordx4 v[12:15], v248, s[12:13] offset:240
	v_mov_b32_e32 v18, s3
	v_add_co_u32_e64 v34, s[0:1], s2, v20
	v_addc_co_u32_e64 v35, s[0:1], v21, v18, s[0:1]
	v_add_co_u32_e64 v36, s[0:1], s2, v34
	v_addc_co_u32_e64 v37, s[0:1], v35, v18, s[0:1]
	global_load_dwordx4 v[18:21], v[34:35], off
	global_load_dwordx4 v[22:25], v[36:37], off
	global_load_dwordx4 v[26:29], v248, s[12:13] offset:480
	global_load_dwordx4 v[30:33], v248, s[12:13] offset:720
	v_mov_b32_e32 v34, s3
	v_add_co_u32_e64 v38, s[0:1], s2, v36
	v_addc_co_u32_e64 v39, s[0:1], v37, v34, s[0:1]
	v_mov_b32_e32 v40, s3
	v_add_co_u32_e64 v66, s[0:1], s2, v38
	v_addc_co_u32_e64 v67, s[0:1], v39, v40, s[0:1]
	;; [unrolled: 3-line block ×5, first 2 shown]
	global_load_dwordx4 v[34:37], v[38:39], off
	v_mov_b32_e32 v80, s3
	v_add_co_u32_e64 v82, s[0:1], s2, v78
	v_addc_co_u32_e64 v83, s[0:1], v79, v80, s[0:1]
	v_mov_b32_e32 v84, s3
	v_add_co_u32_e64 v86, s[0:1], s2, v82
	v_addc_co_u32_e64 v87, s[0:1], v83, v84, s[0:1]
	;; [unrolled: 3-line block ×3, first 2 shown]
	global_load_dwordx4 v[38:41], v248, s[12:13] offset:960
	global_load_dwordx4 v[42:45], v248, s[12:13] offset:1200
	global_load_dwordx4 v[46:49], v[66:67], off
	global_load_dwordx4 v[50:53], v248, s[12:13] offset:1440
	global_load_dwordx4 v[54:57], v248, s[12:13] offset:1680
	;; [unrolled: 1-line block ×4, first 2 shown]
	v_mov_b32_e32 v100, s3
	global_load_dwordx4 v[66:69], v[70:71], off
	v_add_co_u32_e64 v102, s[0:1], s2, v98
	global_load_dwordx4 v[70:73], v[74:75], off
	v_addc_co_u32_e64 v103, s[0:1], v99, v100, s[0:1]
	global_load_dwordx4 v[74:77], v[78:79], off
	v_mov_b32_e32 v104, s3
	v_add_co_u32_e64 v114, s[0:1], s2, v102
	v_addc_co_u32_e64 v115, s[0:1], v103, v104, s[0:1]
	v_mov_b32_e32 v116, s3
	v_add_co_u32_e64 v118, s[0:1], s2, v114
	v_addc_co_u32_e64 v119, s[0:1], v115, v116, s[0:1]
	v_mad_u64_u32 v[130:131], s[0:1], s8, v121, 0
	global_load_dwordx4 v[78:81], v[82:83], off
	v_mov_b32_e32 v120, s3
	global_load_dwordx4 v[82:85], v[86:87], off
	s_nop 0
	global_load_dwordx4 v[86:89], v[98:99], off
	global_load_dwordx4 v[90:93], v248, s[12:13] offset:2400
	global_load_dwordx4 v[94:97], v248, s[12:13] offset:2640
	s_waitcnt vmcnt(20)
	v_mul_f64 v[138:139], v[6:7], v[14:15]
	global_load_dwordx4 v[98:101], v[102:103], off
	s_nop 0
	global_load_dwordx4 v[102:105], v[114:115], off
	global_load_dwordx4 v[106:109], v248, s[12:13] offset:2880
	global_load_dwordx4 v[110:113], v248, s[12:13] offset:3120
	v_mul_f64 v[14:15], v[4:5], v[14:15]
	global_load_dwordx4 v[114:117], v[118:119], off
	v_add_co_u32_e64 v118, s[0:1], s2, v118
	v_addc_co_u32_e64 v119, s[0:1], v119, v120, s[0:1]
	v_mov_b32_e32 v120, v131
	v_mad_u64_u32 v[131:132], s[0:1], s9, v121, v[120:121]
	global_load_dwordx4 v[118:121], v[118:119], off
	s_nop 0
	global_load_dwordx4 v[122:125], v248, s[12:13] offset:3360
	global_load_dwordx4 v[126:129], v248, s[12:13] offset:3600
	s_waitcnt vmcnt(25)
	v_mul_f64 v[140:141], v[20:21], v[28:29]
	v_lshlrev_b64 v[130:131], 4, v[130:131]
	v_mul_f64 v[28:29], v[18:19], v[28:29]
	v_add_co_u32_e64 v16, s[0:1], v16, v130
	v_addc_co_u32_e64 v17, s[0:1], v17, v131, s[0:1]
	global_load_dwordx4 v[130:133], v[16:17], off
	global_load_dwordx4 v[134:137], v248, s[12:13] offset:3840
	v_mul_f64 v[16:17], v[2:3], v[10:11]
	v_mul_f64 v[10:11], v[0:1], v[10:11]
	s_waitcnt vmcnt(26)
	v_mul_f64 v[142:143], v[24:25], v[32:33]
	v_mul_f64 v[32:33], v[22:23], v[32:33]
	v_fma_f64 v[4:5], v[4:5], v[12:13], v[138:139]
	v_fma_f64 v[6:7], v[6:7], v[12:13], -v[14:15]
	v_fma_f64 v[0:1], v[0:1], v[8:9], v[16:17]
	v_fma_f64 v[2:3], v[2:3], v[8:9], -v[10:11]
	;; [unrolled: 2-line block ×4, first 2 shown]
	s_waitcnt vmcnt(24)
	v_mul_f64 v[144:145], v[36:37], v[40:41]
	v_mul_f64 v[40:41], v[34:35], v[40:41]
	s_waitcnt vmcnt(22)
	v_mul_f64 v[146:147], v[48:49], v[44:45]
	v_mul_f64 v[44:45], v[46:47], v[44:45]
	;; [unrolled: 3-line block ×3, first 2 shown]
	v_fma_f64 v[16:17], v[34:35], v[38:39], v[144:145]
	s_waitcnt vmcnt(16)
	v_mul_f64 v[30:31], v[72:73], v[56:57]
	v_mul_f64 v[32:33], v[70:71], v[56:57]
	v_fma_f64 v[18:19], v[36:37], v[38:39], -v[40:41]
	s_waitcnt vmcnt(15)
	v_mul_f64 v[34:35], v[76:77], v[60:61]
	v_mul_f64 v[36:37], v[74:75], v[60:61]
	v_fma_f64 v[20:21], v[46:47], v[42:43], v[146:147]
	v_fma_f64 v[22:23], v[48:49], v[42:43], -v[44:45]
	v_fma_f64 v[24:25], v[66:67], v[50:51], v[26:27]
	v_fma_f64 v[26:27], v[68:69], v[50:51], -v[28:29]
	v_lshl_add_u32 v28, v246, 4, v255
	ds_write_b128 v28, v[0:3]
	v_fma_f64 v[0:1], v[70:71], v[54:55], v[30:31]
	v_fma_f64 v[2:3], v[72:73], v[54:55], -v[32:33]
	v_add_u32_e32 v38, v255, v248
	v_fma_f64 v[28:29], v[74:75], v[58:59], v[34:35]
	v_fma_f64 v[30:31], v[76:77], v[58:59], -v[36:37]
	ds_write_b128 v38, v[4:7] offset:240
	ds_write_b128 v38, v[8:11] offset:480
	;; [unrolled: 1-line block ×8, first 2 shown]
	s_waitcnt vmcnt(14)
	v_mul_f64 v[0:1], v[80:81], v[64:65]
	v_mul_f64 v[2:3], v[78:79], v[64:65]
	s_waitcnt vmcnt(11)
	v_mul_f64 v[4:5], v[84:85], v[92:93]
	v_mul_f64 v[6:7], v[82:83], v[92:93]
	;; [unrolled: 3-line block ×5, first 2 shown]
	v_fma_f64 v[0:1], v[78:79], v[62:63], v[0:1]
	v_fma_f64 v[2:3], v[80:81], v[62:63], -v[2:3]
	v_fma_f64 v[4:5], v[82:83], v[90:91], v[4:5]
	v_fma_f64 v[6:7], v[84:85], v[90:91], -v[6:7]
	;; [unrolled: 2-line block ×3, first 2 shown]
	s_waitcnt vmcnt(3)
	v_mul_f64 v[20:21], v[116:117], v[124:125]
	v_mul_f64 v[22:23], v[114:115], v[124:125]
	s_waitcnt vmcnt(2)
	v_mul_f64 v[24:25], v[120:121], v[128:129]
	v_mul_f64 v[26:27], v[118:119], v[128:129]
	v_fma_f64 v[12:13], v[98:99], v[106:107], v[12:13]
	v_fma_f64 v[14:15], v[100:101], v[106:107], -v[14:15]
	v_fma_f64 v[16:17], v[102:103], v[110:111], v[16:17]
	v_fma_f64 v[18:19], v[104:105], v[110:111], -v[18:19]
	v_fma_f64 v[20:21], v[114:115], v[122:123], v[20:21]
	s_waitcnt vmcnt(0)
	v_mul_f64 v[28:29], v[132:133], v[136:137]
	v_mul_f64 v[30:31], v[130:131], v[136:137]
	v_fma_f64 v[22:23], v[116:117], v[122:123], -v[22:23]
	v_fma_f64 v[24:25], v[118:119], v[126:127], v[24:25]
	v_fma_f64 v[26:27], v[120:121], v[126:127], -v[26:27]
	v_fma_f64 v[28:29], v[130:131], v[134:135], v[28:29]
	v_fma_f64 v[30:31], v[132:133], v[134:135], -v[30:31]
	ds_write_b128 v38, v[0:3] offset:2160
	ds_write_b128 v38, v[4:7] offset:2400
	;; [unrolled: 1-line block ×8, first 2 shown]
.LBB0_3:
	s_or_b64 exec, exec, s[6:7]
	s_load_dwordx2 s[0:1], s[4:5], 0x20
	s_load_dwordx2 s[2:3], s[4:5], 0x8
	s_waitcnt lgkmcnt(0)
	; wave barrier
	s_waitcnt lgkmcnt(0)
                                        ; implicit-def: $vgpr8_vgpr9
                                        ; implicit-def: $vgpr68_vgpr69
                                        ; implicit-def: $vgpr72_vgpr73
                                        ; implicit-def: $vgpr64_vgpr65
                                        ; implicit-def: $vgpr60_vgpr61
                                        ; implicit-def: $vgpr56_vgpr57
                                        ; implicit-def: $vgpr12_vgpr13
                                        ; implicit-def: $vgpr16_vgpr17
                                        ; implicit-def: $vgpr20_vgpr21
                                        ; implicit-def: $vgpr24_vgpr25
                                        ; implicit-def: $vgpr28_vgpr29
                                        ; implicit-def: $vgpr32_vgpr33
                                        ; implicit-def: $vgpr36_vgpr37
                                        ; implicit-def: $vgpr40_vgpr41
                                        ; implicit-def: $vgpr44_vgpr45
                                        ; implicit-def: $vgpr48_vgpr49
                                        ; implicit-def: $vgpr52_vgpr53
	s_and_saveexec_b64 s[4:5], vcc
	s_cbranch_execz .LBB0_5
; %bb.4:
	v_lshl_add_u32 v0, v247, 4, v248
	ds_read_b128 v[8:11], v0
	ds_read_b128 v[68:71], v0 offset:240
	ds_read_b128 v[72:75], v0 offset:480
	;; [unrolled: 1-line block ×16, first 2 shown]
.LBB0_5:
	s_or_b64 exec, exec, s[4:5]
	s_waitcnt lgkmcnt(0)
	v_add_f64 v[140:141], v[70:71], -v[54:55]
	v_add_f64 v[130:131], v[68:69], -v[52:53]
	s_mov_b32 s8, 0x5d8e7cdc
	s_mov_b32 s9, 0xbfd71e95
	v_add_f64 v[112:113], v[68:69], v[52:53]
	v_add_f64 v[118:119], v[70:71], v[54:55]
	v_add_f64 v[152:153], v[74:75], -v[50:51]
	v_add_f64 v[138:139], v[72:73], -v[48:49]
	v_mul_f64 v[84:85], v[140:141], s[8:9]
	v_mul_f64 v[88:89], v[130:131], s[8:9]
	s_mov_b32 s4, 0x370991
	s_mov_b32 s18, 0x2a9d6da3
	;; [unrolled: 1-line block ×4, first 2 shown]
	v_add_f64 v[120:121], v[72:73], v[48:49]
	v_mul_f64 v[86:87], v[152:153], s[18:19]
	v_fma_f64 v[0:1], v[112:113], s[4:5], v[84:85]
	v_add_f64 v[128:129], v[74:75], v[50:51]
	v_add_f64 v[156:157], v[66:67], -v[46:47]
	v_mul_f64 v[90:91], v[138:139], s[18:19]
	v_fma_f64 v[2:3], v[118:119], s[4:5], -v[88:89]
	v_add_f64 v[144:145], v[64:65], -v[44:45]
	s_mov_b32 s6, 0x75d4884
	s_mov_b32 s22, 0x7c9e640b
	;; [unrolled: 1-line block ×4, first 2 shown]
	v_fma_f64 v[4:5], v[120:121], s[6:7], v[86:87]
	v_add_f64 v[0:1], v[8:9], v[0:1]
	v_add_f64 v[126:127], v[64:65], v[44:45]
	v_mul_f64 v[92:93], v[156:157], s[22:23]
	v_fma_f64 v[6:7], v[128:129], s[6:7], -v[90:91]
	v_add_f64 v[2:3], v[10:11], v[2:3]
	v_add_f64 v[136:137], v[66:67], v[46:47]
	v_mul_f64 v[94:95], v[144:145], s[22:23]
	v_add_f64 v[164:165], v[62:63], -v[42:43]
	v_add_f64 v[162:163], v[60:61], -v[40:41]
	s_mov_b32 s16, 0x2b2883cd
	s_mov_b32 s20, 0xeb564b22
	;; [unrolled: 1-line block ×4, first 2 shown]
	v_add_f64 v[0:1], v[4:5], v[0:1]
	v_fma_f64 v[4:5], v[126:127], s[16:17], v[92:93]
	v_add_f64 v[2:3], v[6:7], v[2:3]
	v_add_f64 v[148:149], v[60:61], v[40:41]
	v_fma_f64 v[6:7], v[136:137], s[16:17], -v[94:95]
	v_mul_f64 v[116:117], v[164:165], s[20:21]
	v_add_f64 v[150:151], v[62:63], v[42:43]
	v_mul_f64 v[96:97], v[162:163], s[20:21]
	v_add_f64 v[185:186], v[58:59], -v[38:39]
	v_add_f64 v[170:171], v[56:57], -v[36:37]
	s_mov_b32 s10, 0x3259b75e
	s_mov_b32 s38, 0x923c349f
	s_mov_b32 s11, 0x3fb79ee6
	s_mov_b32 s39, 0xbfeec746
	v_add_f64 v[0:1], v[4:5], v[0:1]
	v_add_f64 v[2:3], v[6:7], v[2:3]
	v_fma_f64 v[4:5], v[148:149], s[10:11], v[116:117]
	v_fma_f64 v[6:7], v[150:151], s[10:11], -v[96:97]
	v_add_f64 v[154:155], v[56:57], v[36:37]
	v_mul_f64 v[132:133], v[185:186], s[38:39]
	v_add_f64 v[160:161], v[58:59], v[38:39]
	v_mul_f64 v[134:135], v[170:171], s[38:39]
	v_add_f64 v[201:202], v[14:15], -v[34:35]
	v_add_f64 v[187:188], v[12:13], -v[32:33]
	s_mov_b32 s26, 0xc61f0d01
	s_mov_b32 s42, 0x6c9a05f6
	;; [unrolled: 1-line block ×4, first 2 shown]
	v_add_f64 v[0:1], v[4:5], v[0:1]
	v_add_f64 v[2:3], v[6:7], v[2:3]
	v_fma_f64 v[4:5], v[154:155], s[26:27], v[132:133]
	v_fma_f64 v[6:7], v[160:161], s[26:27], -v[134:135]
	v_add_f64 v[158:159], v[12:13], v[32:33]
	v_mul_f64 v[142:143], v[201:202], s[42:43]
	v_add_f64 v[166:167], v[14:15], v[34:35]
	v_mul_f64 v[146:147], v[187:188], s[42:43]
	s_mov_b32 s28, 0x6ed5f1bb
	s_mov_b32 s29, 0xbfe348c8
	v_add_f64 v[0:1], v[4:5], v[0:1]
	v_add_f64 v[2:3], v[6:7], v[2:3]
	v_mul_f64 v[168:169], v[140:141], s[18:19]
	v_fma_f64 v[4:5], v[158:159], s[28:29], v[142:143]
	v_mul_f64 v[223:224], v[130:131], s[18:19]
	v_fma_f64 v[6:7], v[166:167], s[28:29], -v[146:147]
	v_mul_f64 v[174:175], v[152:153], s[20:21]
	v_mul_f64 v[217:218], v[138:139], s[20:21]
	v_mul_f64 v[179:180], v[156:157], s[42:43]
	v_mul_f64 v[219:220], v[144:145], s[42:43]
	s_mov_b32 s46, 0xacd6c6b4
	v_add_f64 v[0:1], v[4:5], v[0:1]
	v_fma_f64 v[4:5], v[112:113], s[6:7], v[168:169]
	v_add_f64 v[2:3], v[6:7], v[2:3]
	v_fma_f64 v[6:7], v[118:119], s[6:7], -v[223:224]
	v_fma_f64 v[76:77], v[120:121], s[10:11], v[174:175]
	v_fma_f64 v[78:79], v[128:129], s[10:11], -v[217:218]
	s_mov_b32 s47, 0xbfc7851a
	v_mul_f64 v[181:182], v[164:165], s[46:47]
	v_mul_f64 v[209:210], v[162:163], s[46:47]
	v_add_f64 v[4:5], v[8:9], v[4:5]
	s_mov_b32 s34, 0x4363dd80
	v_add_f64 v[6:7], v[10:11], v[6:7]
	s_mov_b32 s40, 0x7faef3
	s_mov_b32 s35, 0x3fe0d888
	;; [unrolled: 1-line block ×3, first 2 shown]
	v_mul_f64 v[183:184], v[185:186], s[34:35]
	v_mul_f64 v[213:214], v[170:171], s[34:35]
	v_add_f64 v[4:5], v[76:77], v[4:5]
	v_fma_f64 v[76:77], v[126:127], s[28:29], v[179:180]
	v_add_f64 v[6:7], v[78:79], v[6:7]
	v_fma_f64 v[78:79], v[136:137], s[28:29], -v[219:220]
	s_mov_b32 s30, 0x910ea3b9
	s_mov_b32 s31, 0xbfeb34fa
	;; [unrolled: 1-line block ×4, first 2 shown]
	v_add_f64 v[231:232], v[18:19], -v[30:31]
	v_add_f64 v[4:5], v[76:77], v[4:5]
	v_fma_f64 v[76:77], v[148:149], s[40:41], v[181:182]
	v_add_f64 v[6:7], v[78:79], v[6:7]
	v_fma_f64 v[78:79], v[150:151], s[40:41], -v[209:210]
	v_add_f64 v[203:204], v[16:17], -v[28:29]
	v_mul_f64 v[189:190], v[201:202], s[44:45]
	v_mul_f64 v[207:208], v[187:188], s[44:45]
	s_mov_b32 s37, 0xbfe0d888
	s_mov_b32 s36, s34
	v_add_f64 v[4:5], v[76:77], v[4:5]
	v_fma_f64 v[76:77], v[154:155], s[30:31], v[183:184]
	v_add_f64 v[6:7], v[78:79], v[6:7]
	v_fma_f64 v[78:79], v[160:161], s[30:31], -v[213:214]
	s_mov_b32 s51, 0x3feca52d
	s_mov_b32 s50, s22
	v_add_f64 v[199:200], v[16:17], v[28:29]
	v_mul_f64 v[172:173], v[231:232], s[36:37]
	v_add_f64 v[215:216], v[18:19], v[30:31]
	v_mul_f64 v[177:178], v[203:204], s[36:37]
	v_add_f64 v[225:226], v[22:23], -v[26:27]
	v_add_f64 v[205:206], v[20:21], -v[24:25]
	v_add_f64 v[4:5], v[76:77], v[4:5]
	v_add_f64 v[6:7], v[78:79], v[6:7]
	v_fma_f64 v[76:77], v[158:159], s[26:27], v[189:190]
	v_fma_f64 v[78:79], v[166:167], s[26:27], -v[207:208]
	v_mul_f64 v[195:196], v[231:232], s[50:51]
	v_mul_f64 v[221:222], v[203:204], s[50:51]
	s_mov_b32 s49, 0x3fd71e95
	s_mov_b32 s48, s8
	v_fma_f64 v[80:81], v[199:200], s[30:31], v[172:173]
	v_fma_f64 v[82:83], v[215:216], s[30:31], -v[177:178]
	v_add_f64 v[211:212], v[20:21], v[24:25]
	v_mul_f64 v[191:192], v[225:226], s[46:47]
	v_add_f64 v[229:230], v[22:23], v[26:27]
	v_mul_f64 v[193:194], v[205:206], s[46:47]
	v_add_f64 v[4:5], v[76:77], v[4:5]
	v_add_f64 v[6:7], v[78:79], v[6:7]
	v_fma_f64 v[76:77], v[199:200], s[16:17], v[195:196]
	v_fma_f64 v[78:79], v[215:216], s[16:17], -v[221:222]
	v_mul_f64 v[197:198], v[225:226], s[48:49]
	v_mul_f64 v[227:228], v[205:206], s[48:49]
	v_add_f64 v[0:1], v[80:81], v[0:1]
	v_add_f64 v[2:3], v[82:83], v[2:3]
	v_fma_f64 v[80:81], v[211:212], s[40:41], v[191:192]
	v_fma_f64 v[82:83], v[229:230], s[40:41], -v[193:194]
	v_add_f64 v[4:5], v[76:77], v[4:5]
	v_add_f64 v[6:7], v[78:79], v[6:7]
	v_fma_f64 v[76:77], v[211:212], s[4:5], v[197:198]
	v_fma_f64 v[78:79], v[229:230], s[4:5], -v[227:228]
	s_waitcnt lgkmcnt(0)
	; wave barrier
	v_add_f64 v[249:250], v[80:81], v[0:1]
	v_add_f64 v[251:252], v[82:83], v[2:3]
	;; [unrolled: 1-line block ×4, first 2 shown]
	s_and_saveexec_b64 s[24:25], vcc
	s_cbranch_execz .LBB0_7
; %bb.6:
	v_mul_f64 v[0:1], v[118:119], s[40:41]
	s_mov_b32 s53, 0x3fc7851a
	s_mov_b32 s52, s46
	v_mul_f64 v[76:77], v[128:129], s[4:5]
	v_mul_f64 v[78:79], v[140:141], s[46:47]
	buffer_store_dword v84, off, s[60:63], 0 offset:56 ; 4-byte Folded Spill
	s_nop 0
	buffer_store_dword v85, off, s[60:63], 0 offset:60 ; 4-byte Folded Spill
	buffer_store_dword v86, off, s[60:63], 0 offset:24 ; 4-byte Folded Spill
	s_nop 0
	buffer_store_dword v87, off, s[60:63], 0 offset:28 ; 4-byte Folded Spill
	buffer_store_dword v88, off, s[60:63], 0 offset:88 ; 4-byte Folded Spill
	s_nop 0
	buffer_store_dword v89, off, s[60:63], 0 offset:92 ; 4-byte Folded Spill
	v_fma_f64 v[80:81], v[130:131], s[52:53], v[0:1]
	buffer_store_dword v90, off, s[60:63], 0 offset:72 ; 4-byte Folded Spill
	s_nop 0
	buffer_store_dword v91, off, s[60:63], 0 offset:76 ; 4-byte Folded Spill
	v_mul_f64 v[84:85], v[136:137], s[30:31]
	v_mul_f64 v[86:87], v[152:153], s[48:49]
	v_fma_f64 v[88:89], v[138:139], s[8:9], v[76:77]
	v_fma_f64 v[90:91], v[112:113], s[40:41], v[78:79]
	;; [unrolled: 1-line block ×3, first 2 shown]
	buffer_store_dword v92, off, s[60:63], 0 offset:16 ; 4-byte Folded Spill
	s_nop 0
	buffer_store_dword v93, off, s[60:63], 0 offset:20 ; 4-byte Folded Spill
	v_add_f64 v[80:81], v[10:11], v[80:81]
	buffer_store_dword v94, off, s[60:63], 0 offset:40 ; 4-byte Folded Spill
	s_nop 0
	buffer_store_dword v95, off, s[60:63], 0 offset:44 ; 4-byte Folded Spill
	buffer_store_dword v96, off, s[60:63], 0 offset:96 ; 4-byte Folded Spill
	s_nop 0
	buffer_store_dword v97, off, s[60:63], 0 offset:100 ; 4-byte Folded Spill
	v_mul_f64 v[92:93], v[150:151], s[6:7]
	v_mul_f64 v[94:95], v[156:157], s[36:37]
	v_fma_f64 v[96:97], v[144:145], s[34:35], v[84:85]
	v_fma_f64 v[98:99], v[120:121], s[4:5], v[86:87]
	v_add_f64 v[90:91], v[8:9], v[90:91]
	v_add_f64 v[80:81], v[88:89], v[80:81]
	v_fma_f64 v[76:77], v[138:139], s[48:49], v[76:77]
	v_add_f64 v[0:1], v[10:11], v[0:1]
	s_mov_b32 s55, 0x3fe58eea
	s_mov_b32 s54, s18
	v_mul_f64 v[82:83], v[160:161], s[28:29]
	v_mul_f64 v[88:89], v[164:165], s[54:55]
	v_fma_f64 v[100:101], v[162:163], s[18:19], v[92:93]
	v_fma_f64 v[102:103], v[126:127], s[30:31], v[94:95]
	v_add_f64 v[90:91], v[98:99], v[90:91]
	v_add_f64 v[80:81], v[96:97], v[80:81]
	v_fma_f64 v[84:85], v[144:145], s[36:37], v[84:85]
	v_add_f64 v[0:1], v[76:77], v[0:1]
	s_mov_b32 s59, 0x3fe9895b
	s_mov_b32 s58, s42
	v_mul_f64 v[6:7], v[166:167], s[16:17]
	v_mul_f64 v[96:97], v[185:186], s[42:43]
	v_fma_f64 v[76:77], v[170:171], s[58:59], v[82:83]
	v_fma_f64 v[98:99], v[148:149], s[6:7], v[88:89]
	v_add_f64 v[90:91], v[102:103], v[90:91]
	v_add_f64 v[80:81], v[100:101], v[80:81]
	v_fma_f64 v[92:93], v[162:163], s[54:55], v[92:93]
	v_add_f64 v[0:1], v[84:85], v[0:1]
	v_mul_f64 v[4:5], v[215:216], s[26:27]
	v_mul_f64 v[102:103], v[201:202], s[50:51]
	v_fma_f64 v[84:85], v[187:188], s[22:23], v[6:7]
	v_fma_f64 v[233:234], v[154:155], s[28:29], v[96:97]
	v_fma_f64 v[78:79], v[112:113], s[40:41], -v[78:79]
	v_add_f64 v[90:91], v[98:99], v[90:91]
	v_add_f64 v[76:77], v[76:77], v[80:81]
	v_fma_f64 v[82:83], v[170:171], s[42:43], v[82:83]
	v_add_f64 v[0:1], v[92:93], v[0:1]
	v_mul_f64 v[100:101], v[231:232], s[38:39]
	v_fma_f64 v[92:93], v[203:204], s[44:45], v[4:5]
	v_fma_f64 v[86:87], v[120:121], s[4:5], -v[86:87]
	v_add_f64 v[78:79], v[8:9], v[78:79]
	v_fma_f64 v[98:99], v[158:159], s[16:17], v[102:103]
	v_add_f64 v[90:91], v[233:234], v[90:91]
	v_add_f64 v[76:77], v[84:85], v[76:77]
	v_fma_f64 v[6:7], v[187:188], s[50:51], v[6:7]
	v_add_f64 v[0:1], v[82:83], v[0:1]
	v_mul_f64 v[2:3], v[229:230], s[10:11]
	v_fma_f64 v[82:83], v[126:127], s[30:31], -v[94:95]
	v_add_f64 v[78:79], v[86:87], v[78:79]
	v_fma_f64 v[86:87], v[199:200], s[26:27], v[100:101]
	v_add_f64 v[90:91], v[98:99], v[90:91]
	v_fma_f64 v[4:5], v[203:204], s[38:39], v[4:5]
	s_mov_b32 s57, 0x3fefdd0d
	v_add_f64 v[0:1], v[6:7], v[0:1]
	v_add_f64 v[6:7], v[92:93], v[76:77]
	v_fma_f64 v[76:77], v[148:149], s[6:7], -v[88:89]
	v_mul_f64 v[88:89], v[118:119], s[30:31]
	s_mov_b32 s56, s20
	v_fma_f64 v[80:81], v[205:206], s[20:21], v[2:3]
	v_mul_f64 v[84:85], v[225:226], s[56:57]
	v_add_f64 v[78:79], v[82:83], v[78:79]
	v_add_f64 v[86:87], v[86:87], v[90:91]
	v_mul_f64 v[90:91], v[140:141], s[36:37]
	v_add_f64 v[0:1], v[4:5], v[0:1]
	v_mul_f64 v[4:5], v[128:129], s[16:17]
	v_fma_f64 v[92:93], v[130:131], s[34:35], v[88:89]
	v_fma_f64 v[94:95], v[154:155], s[28:29], -v[96:97]
	v_fma_f64 v[82:83], v[211:212], s[10:11], v[84:85]
	v_add_f64 v[76:77], v[76:77], v[78:79]
	v_add_f64 v[78:79], v[80:81], v[6:7]
	v_mul_f64 v[6:7], v[152:153], s[50:51]
	v_fma_f64 v[80:81], v[112:113], s[30:31], v[90:91]
	v_mul_f64 v[96:97], v[136:137], s[10:11]
	v_fma_f64 v[98:99], v[138:139], s[22:23], v[4:5]
	v_add_f64 v[92:93], v[10:11], v[92:93]
	v_fma_f64 v[102:103], v[158:159], s[16:17], -v[102:103]
	v_add_f64 v[94:95], v[94:95], v[76:77]
	v_mul_f64 v[233:234], v[156:157], s[20:21]
	v_fma_f64 v[235:236], v[120:121], s[16:17], v[6:7]
	v_add_f64 v[80:81], v[8:9], v[80:81]
	v_add_f64 v[76:77], v[82:83], v[86:87]
	v_fma_f64 v[82:83], v[144:145], s[56:57], v[96:97]
	v_add_f64 v[86:87], v[98:99], v[92:93]
	v_mul_f64 v[92:93], v[150:151], s[28:29]
	v_fma_f64 v[2:3], v[205:206], s[56:57], v[2:3]
	v_fma_f64 v[98:99], v[199:200], s[26:27], -v[100:101]
	v_add_f64 v[94:95], v[102:103], v[94:95]
	v_fma_f64 v[100:101], v[126:127], s[10:11], v[233:234]
	v_add_f64 v[80:81], v[235:236], v[80:81]
	v_mul_f64 v[102:103], v[164:165], s[58:59]
	v_mul_f64 v[235:236], v[160:161], s[4:5]
	v_add_f64 v[82:83], v[82:83], v[86:87]
	v_fma_f64 v[86:87], v[162:163], s[42:43], v[92:93]
	v_fma_f64 v[88:89], v[130:131], s[36:37], v[88:89]
	buffer_store_dword v238, off, s[60:63], 0 ; 4-byte Folded Spill
	s_nop 0
	buffer_store_dword v239, off, s[60:63], 0 offset:4 ; 4-byte Folded Spill
	buffer_store_dword v240, off, s[60:63], 0 offset:8 ; 4-byte Folded Spill
	;; [unrolled: 1-line block ×3, first 2 shown]
	v_add_f64 v[94:95], v[98:99], v[94:95]
	v_add_f64 v[80:81], v[100:101], v[80:81]
	v_fma_f64 v[98:99], v[148:149], s[28:29], v[102:103]
	v_mul_f64 v[100:101], v[185:186], s[8:9]
	v_fma_f64 v[237:238], v[170:171], s[48:49], v[235:236]
	v_add_f64 v[86:87], v[86:87], v[82:83]
	v_add_f64 v[82:83], v[2:3], v[0:1]
	v_fma_f64 v[0:1], v[112:113], s[30:31], -v[90:91]
	v_fma_f64 v[2:3], v[138:139], s[50:51], v[4:5]
	v_add_f64 v[4:5], v[10:11], v[88:89]
	v_mul_f64 v[88:89], v[166:167], s[40:41]
	v_fma_f64 v[84:85], v[211:212], s[10:11], -v[84:85]
	v_add_f64 v[90:91], v[98:99], v[80:81]
	v_fma_f64 v[98:99], v[154:155], s[4:5], v[100:101]
	v_add_f64 v[86:87], v[237:238], v[86:87]
	v_fma_f64 v[6:7], v[120:121], s[16:17], -v[6:7]
	v_mul_f64 v[237:238], v[201:202], s[46:47]
	v_add_f64 v[0:1], v[8:9], v[0:1]
	v_add_f64 v[2:3], v[2:3], v[4:5]
	v_fma_f64 v[4:5], v[187:188], s[52:53], v[88:89]
	v_mul_f64 v[239:240], v[215:216], s[6:7]
	v_fma_f64 v[96:97], v[144:145], s[20:21], v[96:97]
	v_add_f64 v[80:81], v[84:85], v[94:95]
	v_add_f64 v[84:85], v[98:99], v[90:91]
	v_fma_f64 v[90:91], v[158:159], s[40:41], v[237:238]
	v_add_f64 v[0:1], v[6:7], v[0:1]
	v_fma_f64 v[6:7], v[126:127], s[10:11], -v[233:234]
	v_add_f64 v[4:5], v[4:5], v[86:87]
	v_fma_f64 v[86:87], v[203:204], s[18:19], v[239:240]
	v_mul_f64 v[94:95], v[231:232], s[54:55]
	v_add_f64 v[2:3], v[96:97], v[2:3]
	v_fma_f64 v[92:93], v[162:163], s[58:59], v[92:93]
	v_add_f64 v[84:85], v[90:91], v[84:85]
	v_mul_f64 v[90:91], v[229:230], s[26:27]
	v_add_f64 v[0:1], v[6:7], v[0:1]
	v_mul_f64 v[6:7], v[225:226], s[38:39]
	v_fma_f64 v[96:97], v[148:149], s[28:29], -v[102:103]
	v_add_f64 v[4:5], v[86:87], v[4:5]
	v_fma_f64 v[86:87], v[199:200], s[6:7], v[94:95]
	v_mul_f64 v[102:103], v[118:119], s[28:29]
	v_add_f64 v[2:3], v[92:93], v[2:3]
	v_fma_f64 v[92:93], v[170:171], s[8:9], v[235:236]
	v_fma_f64 v[98:99], v[205:206], s[44:45], v[90:91]
	v_fma_f64 v[100:101], v[154:155], s[4:5], -v[100:101]
	v_add_f64 v[0:1], v[96:97], v[0:1]
	v_fma_f64 v[96:97], v[211:212], s[26:27], v[6:7]
	v_add_f64 v[84:85], v[86:87], v[84:85]
	v_mul_f64 v[233:234], v[128:129], s[26:27]
	v_fma_f64 v[235:236], v[130:131], s[58:59], v[102:103]
	v_fma_f64 v[88:89], v[187:188], s[46:47], v[88:89]
	v_add_f64 v[2:3], v[92:93], v[2:3]
	v_fma_f64 v[92:93], v[158:159], s[40:41], -v[237:238]
	v_add_f64 v[0:1], v[100:101], v[0:1]
	v_add_f64 v[86:87], v[98:99], v[4:5]
	;; [unrolled: 1-line block ×3, first 2 shown]
	v_mul_f64 v[96:97], v[140:141], s[42:43]
	v_mul_f64 v[98:99], v[136:137], s[4:5]
	v_fma_f64 v[100:101], v[138:139], s[38:39], v[233:234]
	v_add_f64 v[235:236], v[10:11], v[235:236]
	v_fma_f64 v[4:5], v[203:204], s[54:55], v[239:240]
	v_add_f64 v[2:3], v[88:89], v[2:3]
	v_fma_f64 v[88:89], v[199:200], s[6:7], -v[94:95]
	v_add_f64 v[0:1], v[92:93], v[0:1]
	v_mul_f64 v[237:238], v[152:153], s[44:45]
	v_fma_f64 v[92:93], v[112:113], s[28:29], v[96:97]
	v_fma_f64 v[94:95], v[144:145], s[48:49], v[98:99]
	v_add_f64 v[100:101], v[100:101], v[235:236]
	v_mul_f64 v[235:236], v[150:151], s[30:31]
	v_fma_f64 v[90:91], v[205:206], s[38:39], v[90:91]
	v_add_f64 v[2:3], v[4:5], v[2:3]
	v_fma_f64 v[4:5], v[211:212], s[26:27], -v[6:7]
	v_add_f64 v[0:1], v[88:89], v[0:1]
	v_mul_f64 v[6:7], v[156:157], s[8:9]
	v_fma_f64 v[239:240], v[120:121], s[26:27], v[237:238]
	v_add_f64 v[92:93], v[8:9], v[92:93]
	v_add_f64 v[94:95], v[94:95], v[100:101]
	v_fma_f64 v[100:101], v[162:163], s[34:35], v[235:236]
	v_mul_f64 v[241:242], v[160:161], s[10:11]
	v_add_f64 v[90:91], v[90:91], v[2:3]
	v_add_f64 v[88:89], v[4:5], v[0:1]
	v_fma_f64 v[2:3], v[126:127], s[4:5], v[6:7]
	v_mul_f64 v[243:244], v[185:186], s[56:57]
	v_add_f64 v[0:1], v[239:240], v[92:93]
	v_mul_f64 v[239:240], v[166:167], s[6:7]
	v_add_f64 v[4:5], v[100:101], v[94:95]
	v_fma_f64 v[92:93], v[170:171], s[20:21], v[241:242]
	v_mul_f64 v[100:101], v[164:165], s[36:37]
	v_mov_b32_e32 v255, v246
	v_mul_f64 v[245:246], v[215:216], s[40:41]
	v_mov_b32_e32 v122, v249
	v_add_f64 v[0:1], v[2:3], v[0:1]
	v_mov_b32_e32 v123, v250
	v_mov_b32_e32 v124, v251
	v_add_f64 v[2:3], v[92:93], v[4:5]
	v_fma_f64 v[4:5], v[148:149], s[30:31], v[100:101]
	v_fma_f64 v[92:93], v[187:188], s[54:55], v[239:240]
	v_mov_b32_e32 v125, v252
	v_mul_f64 v[249:250], v[231:232], s[46:47]
	v_mul_f64 v[251:252], v[229:230], s[16:17]
	v_fma_f64 v[98:99], v[144:145], s[8:9], v[98:99]
	v_fma_f64 v[96:97], v[112:113], s[28:29], -v[96:97]
	v_fma_f64 v[6:7], v[126:127], s[4:5], -v[6:7]
	v_add_f64 v[0:1], v[4:5], v[0:1]
	v_fma_f64 v[4:5], v[154:155], s[10:11], v[243:244]
	v_add_f64 v[2:3], v[92:93], v[2:3]
	v_mul_f64 v[253:254], v[185:186], s[46:47]
	v_mul_f64 v[104:105], v[201:202], s[56:57]
	;; [unrolled: 1-line block ×3, first 2 shown]
	v_add_f64 v[96:97], v[8:9], v[96:97]
	v_mul_f64 v[108:109], v[229:230], s[28:29]
	v_add_f64 v[68:69], v[8:9], v[68:69]
	v_add_f64 v[0:1], v[4:5], v[0:1]
	v_fma_f64 v[4:5], v[203:204], s[52:53], v[245:246]
	v_mul_f64 v[110:111], v[229:230], s[6:7]
	v_add_f64 v[72:73], v[68:69], v[72:73]
	v_add_f64 v[2:3], v[4:5], v[2:3]
	v_mul_f64 v[4:5], v[201:202], s[18:19]
	v_add_f64 v[72:73], v[72:73], v[64:65]
	v_fma_f64 v[92:93], v[158:159], s[6:7], v[4:5]
	v_fma_f64 v[4:5], v[158:159], s[6:7], -v[4:5]
	v_add_f64 v[60:61], v[72:73], v[60:61]
	v_add_f64 v[0:1], v[92:93], v[0:1]
	v_fma_f64 v[92:93], v[199:200], s[40:41], v[249:250]
	v_add_f64 v[56:57], v[60:61], v[56:57]
	v_add_f64 v[0:1], v[92:93], v[0:1]
	v_fma_f64 v[92:93], v[205:206], s[22:23], v[251:252]
	v_add_f64 v[12:13], v[56:57], v[12:13]
	v_add_f64 v[94:95], v[92:93], v[2:3]
	v_mul_f64 v[2:3], v[225:226], s[50:51]
	v_add_f64 v[12:13], v[12:13], v[16:17]
	v_fma_f64 v[92:93], v[211:212], s[16:17], v[2:3]
	v_fma_f64 v[2:3], v[211:212], s[16:17], -v[2:3]
	v_add_f64 v[12:13], v[12:13], v[20:21]
	v_add_f64 v[92:93], v[92:93], v[0:1]
	v_fma_f64 v[0:1], v[130:131], s[42:43], v[102:103]
	v_fma_f64 v[102:103], v[138:139], s[44:45], v[233:234]
	v_mul_f64 v[233:234], v[118:119], s[26:27]
	v_add_f64 v[12:13], v[12:13], v[24:25]
	v_add_f64 v[0:1], v[10:11], v[0:1]
	;; [unrolled: 1-line block ×4, first 2 shown]
	v_fma_f64 v[102:103], v[120:121], s[26:27], -v[237:238]
	v_mul_f64 v[237:238], v[136:137], s[6:7]
	v_add_f64 v[12:13], v[12:13], v[32:33]
	v_add_f64 v[0:1], v[98:99], v[0:1]
	v_fma_f64 v[98:99], v[162:163], s[36:37], v[235:236]
	v_add_f64 v[96:97], v[102:103], v[96:97]
	v_fma_f64 v[102:103], v[130:131], s[44:45], v[233:234]
	v_mul_f64 v[235:236], v[128:129], s[30:31]
	v_add_f64 v[12:13], v[12:13], v[36:37]
	v_add_f64 v[0:1], v[98:99], v[0:1]
	v_fma_f64 v[98:99], v[170:171], s[56:57], v[241:242]
	v_add_f64 v[6:7], v[6:7], v[96:97]
	v_add_f64 v[96:97], v[10:11], v[102:103]
	v_mul_f64 v[241:242], v[160:161], s[40:41]
	v_add_f64 v[12:13], v[12:13], v[40:41]
	v_add_f64 v[0:1], v[98:99], v[0:1]
	v_fma_f64 v[98:99], v[187:188], s[18:19], v[239:240]
	v_mul_f64 v[239:240], v[150:151], s[16:17]
	v_add_f64 v[12:13], v[12:13], v[44:45]
	v_add_f64 v[0:1], v[98:99], v[0:1]
	v_fma_f64 v[98:99], v[203:204], s[46:47], v[245:246]
	v_mul_f64 v[245:246], v[215:216], s[4:5]
	v_add_f64 v[12:13], v[12:13], v[48:49]
	v_add_f64 v[0:1], v[98:99], v[0:1]
	v_fma_f64 v[98:99], v[148:149], s[30:31], -v[100:101]
	v_fma_f64 v[100:101], v[138:139], s[36:37], v[235:236]
	v_add_f64 v[6:7], v[98:99], v[6:7]
	v_fma_f64 v[98:99], v[154:155], s[10:11], -v[243:244]
	v_add_f64 v[96:97], v[100:101], v[96:97]
	v_fma_f64 v[100:101], v[144:145], s[18:19], v[237:238]
	v_mul_f64 v[243:244], v[166:167], s[10:11]
	v_add_f64 v[6:7], v[98:99], v[6:7]
	v_fma_f64 v[98:99], v[162:163], s[50:51], v[239:240]
	v_add_f64 v[96:97], v[100:101], v[96:97]
	v_fma_f64 v[100:101], v[205:206], s[50:51], v[251:252]
	v_fma_f64 v[102:103], v[187:188], s[20:21], v[243:244]
	v_mul_f64 v[251:252], v[164:165], s[22:23]
	v_add_f64 v[4:5], v[4:5], v[6:7]
	v_fma_f64 v[6:7], v[199:200], s[40:41], -v[249:250]
	v_add_f64 v[96:97], v[98:99], v[96:97]
	v_fma_f64 v[98:99], v[170:171], s[52:53], v[241:242]
	v_mul_f64 v[249:250], v[156:157], s[54:55]
	v_add_f64 v[4:5], v[6:7], v[4:5]
	v_add_f64 v[6:7], v[98:99], v[96:97]
	;; [unrolled: 1-line block ×4, first 2 shown]
	v_fma_f64 v[2:3], v[203:204], s[48:49], v[245:246]
	v_add_f64 v[0:1], v[102:103], v[6:7]
	v_mul_f64 v[4:5], v[140:141], s[38:39]
	v_mul_f64 v[6:7], v[152:153], s[34:35]
	v_add_f64 v[0:1], v[2:3], v[0:1]
	v_fma_f64 v[2:3], v[112:113], s[26:27], v[4:5]
	v_fma_f64 v[100:101], v[120:121], s[30:31], v[6:7]
	v_fma_f64 v[4:5], v[112:113], s[26:27], -v[4:5]
	v_fma_f64 v[6:7], v[120:121], s[30:31], -v[6:7]
	v_add_f64 v[2:3], v[8:9], v[2:3]
	v_add_f64 v[4:5], v[8:9], v[4:5]
	;; [unrolled: 1-line block ×3, first 2 shown]
	v_fma_f64 v[100:101], v[126:127], s[6:7], v[249:250]
	v_add_f64 v[4:5], v[6:7], v[4:5]
	v_fma_f64 v[6:7], v[126:127], s[6:7], -v[249:250]
	v_mul_f64 v[249:250], v[185:186], s[22:23]
	v_add_f64 v[2:3], v[100:101], v[2:3]
	v_fma_f64 v[100:101], v[148:149], s[16:17], v[251:252]
	v_add_f64 v[4:5], v[6:7], v[4:5]
	v_fma_f64 v[6:7], v[162:163], s[22:23], v[239:240]
	v_mul_f64 v[239:240], v[136:137], s[26:27]
	v_add_f64 v[2:3], v[100:101], v[2:3]
	v_fma_f64 v[100:101], v[154:155], s[40:41], v[253:254]
	v_add_f64 v[2:3], v[100:101], v[2:3]
	v_fma_f64 v[100:101], v[158:159], s[10:11], v[104:105]
	;; [unrolled: 2-line block ×4, first 2 shown]
	v_fma_f64 v[108:109], v[205:206], s[42:43], v[108:109]
	v_add_f64 v[102:103], v[100:101], v[0:1]
	v_mul_f64 v[0:1], v[225:226], s[42:43]
	v_fma_f64 v[100:101], v[211:212], s[28:29], v[0:1]
	v_fma_f64 v[0:1], v[211:212], s[28:29], -v[0:1]
	v_add_f64 v[100:101], v[100:101], v[2:3]
	v_fma_f64 v[2:3], v[130:131], s[38:39], v[233:234]
	v_fma_f64 v[233:234], v[138:139], s[34:35], v[235:236]
	v_add_f64 v[2:3], v[10:11], v[2:3]
	v_add_f64 v[2:3], v[233:234], v[2:3]
	v_fma_f64 v[233:234], v[144:145], s[54:55], v[237:238]
	v_add_f64 v[2:3], v[233:234], v[2:3]
	v_fma_f64 v[233:234], v[187:188], s[56:57], v[243:244]
	v_mul_f64 v[243:244], v[156:157], s[44:45]
	v_add_f64 v[2:3], v[6:7], v[2:3]
	v_fma_f64 v[6:7], v[148:149], s[16:17], -v[251:252]
	v_mul_f64 v[251:252], v[201:202], s[36:37]
	v_add_f64 v[4:5], v[6:7], v[4:5]
	v_fma_f64 v[6:7], v[170:171], s[46:47], v[241:242]
	v_mul_f64 v[241:242], v[152:153], s[46:47]
	v_add_f64 v[2:3], v[6:7], v[2:3]
	v_fma_f64 v[6:7], v[154:155], s[40:41], -v[253:254]
	v_mul_f64 v[253:254], v[231:232], s[58:59]
	v_add_f64 v[2:3], v[233:234], v[2:3]
	v_add_f64 v[4:5], v[6:7], v[4:5]
	v_fma_f64 v[6:7], v[158:159], s[10:11], -v[104:105]
	v_mul_f64 v[104:105], v[118:119], s[10:11]
	v_fma_f64 v[233:234], v[203:204], s[8:9], v[245:246]
	v_mul_f64 v[245:246], v[164:165], s[48:49]
	v_add_f64 v[4:5], v[6:7], v[4:5]
	v_fma_f64 v[6:7], v[199:200], s[4:5], -v[106:107]
	v_mul_f64 v[106:107], v[128:129], s[40:41]
	v_fma_f64 v[235:236], v[130:131], s[56:57], v[104:105]
	v_add_f64 v[2:3], v[233:234], v[2:3]
	v_fma_f64 v[104:105], v[130:131], s[20:21], v[104:105]
	v_add_f64 v[4:5], v[6:7], v[4:5]
	;; [unrolled: 2-line block ×3, first 2 shown]
	v_add_f64 v[235:236], v[108:109], v[2:3]
	v_fma_f64 v[2:3], v[144:145], s[38:39], v[239:240]
	v_mul_f64 v[108:109], v[160:161], s[16:17]
	v_fma_f64 v[106:107], v[138:139], s[46:47], v[106:107]
	v_add_f64 v[104:105], v[10:11], v[104:105]
	v_add_f64 v[233:234], v[0:1], v[4:5]
	v_mul_f64 v[4:5], v[150:151], s[4:5]
	v_add_f64 v[0:1], v[6:7], v[237:238]
	v_add_f64 v[6:7], v[10:11], v[70:71]
	v_mul_f64 v[237:238], v[215:216], s[28:29]
	v_fma_f64 v[70:71], v[120:121], s[40:41], v[241:242]
	v_add_f64 v[104:105], v[106:107], v[104:105]
	v_fma_f64 v[106:107], v[144:145], s[44:45], v[239:240]
	v_add_f64 v[0:1], v[2:3], v[0:1]
	;; [unrolled: 2-line block ×3, first 2 shown]
	v_mul_f64 v[74:75], v[166:167], s[30:31]
	v_fma_f64 v[4:5], v[162:163], s[48:49], v[4:5]
	v_add_f64 v[104:105], v[106:107], v[104:105]
	v_mul_f64 v[106:107], v[118:119], s[16:17]
	v_add_f64 v[0:1], v[2:3], v[0:1]
	v_fma_f64 v[2:3], v[170:171], s[50:51], v[108:109]
	v_add_f64 v[6:7], v[6:7], v[66:67]
	v_fma_f64 v[66:67], v[205:206], s[54:55], v[110:111]
	v_add_f64 v[4:5], v[4:5], v[104:105]
	v_fma_f64 v[104:105], v[170:171], s[22:23], v[108:109]
	v_fma_f64 v[108:109], v[130:131], s[50:51], v[106:107]
	v_fma_f64 v[106:107], v[130:131], s[22:23], v[106:107]
	v_add_f64 v[0:1], v[2:3], v[0:1]
	v_fma_f64 v[2:3], v[187:188], s[34:35], v[74:75]
	v_fma_f64 v[74:75], v[187:188], s[36:37], v[74:75]
	v_add_f64 v[6:7], v[6:7], v[62:63]
	v_mul_f64 v[62:63], v[150:151], s[26:27]
	v_add_f64 v[4:5], v[104:105], v[4:5]
	v_fma_f64 v[104:105], v[203:204], s[58:59], v[237:238]
	v_add_f64 v[0:1], v[2:3], v[0:1]
	v_fma_f64 v[2:3], v[203:204], s[42:43], v[237:238]
	v_add_f64 v[6:7], v[6:7], v[58:59]
	v_add_f64 v[4:5], v[74:75], v[4:5]
	v_fma_f64 v[74:75], v[120:121], s[40:41], -v[241:242]
	buffer_load_dword v238, off, s[60:63], 0 ; 4-byte Folded Reload
	buffer_load_dword v239, off, s[60:63], 0 offset:4 ; 4-byte Folded Reload
	buffer_load_dword v240, off, s[60:63], 0 offset:8 ; 4-byte Folded Reload
	;; [unrolled: 1-line block ×3, first 2 shown]
	v_add_f64 v[0:1], v[2:3], v[0:1]
	v_mul_f64 v[2:3], v[140:141], s[20:21]
	v_add_f64 v[6:7], v[6:7], v[14:15]
	v_add_f64 v[4:5], v[104:105], v[4:5]
	v_mul_f64 v[104:105], v[140:141], s[22:23]
	v_mul_f64 v[140:141], v[156:157], s[52:53]
	;; [unrolled: 1-line block ×3, first 2 shown]
	v_fma_f64 v[68:69], v[112:113], s[10:11], v[2:3]
	v_fma_f64 v[2:3], v[112:113], s[10:11], -v[2:3]
	v_add_f64 v[66:67], v[66:67], v[4:5]
	v_mul_f64 v[4:5], v[136:137], s[40:41]
	v_add_f64 v[6:7], v[6:7], v[18:19]
	v_add_f64 v[68:69], v[8:9], v[68:69]
	v_add_f64 v[2:3], v[8:9], v[2:3]
	v_add_f64 v[6:7], v[6:7], v[22:23]
	v_add_f64 v[22:23], v[156:157], -v[168:169]
	v_add_f64 v[68:69], v[70:71], v[68:69]
	v_fma_f64 v[70:71], v[126:127], s[26:27], v[243:244]
	v_add_f64 v[2:3], v[74:75], v[2:3]
	v_fma_f64 v[74:75], v[126:127], s[26:27], -v[243:244]
	v_add_f64 v[6:7], v[6:7], v[26:27]
	v_add_f64 v[68:69], v[70:71], v[68:69]
	v_fma_f64 v[70:71], v[148:149], s[4:5], v[245:246]
	v_add_f64 v[2:3], v[74:75], v[2:3]
	v_fma_f64 v[74:75], v[148:149], s[4:5], -v[245:246]
	v_add_f64 v[6:7], v[6:7], v[30:31]
	v_mov_b32_e32 v246, v255
	v_lshlrev_b32_e32 v255, 4, v247
	v_add_f64 v[68:69], v[70:71], v[68:69]
	v_fma_f64 v[70:71], v[154:155], s[16:17], v[249:250]
	v_add_f64 v[2:3], v[74:75], v[2:3]
	v_fma_f64 v[74:75], v[154:155], s[16:17], -v[249:250]
	v_add_f64 v[6:7], v[6:7], v[34:35]
	v_add_f64 v[68:69], v[70:71], v[68:69]
	v_fma_f64 v[70:71], v[158:159], s[30:31], v[251:252]
	v_add_f64 v[2:3], v[74:75], v[2:3]
	v_fma_f64 v[74:75], v[158:159], s[30:31], -v[251:252]
	v_add_f64 v[6:7], v[6:7], v[38:39]
	v_mov_b32_e32 v252, v125
	v_mov_b32_e32 v251, v124
	;; [unrolled: 1-line block ×4, first 2 shown]
	v_add_f64 v[68:69], v[70:71], v[68:69]
	v_fma_f64 v[70:71], v[199:200], s[28:29], v[253:254]
	v_add_f64 v[2:3], v[74:75], v[2:3]
	v_fma_f64 v[74:75], v[199:200], s[28:29], -v[253:254]
	v_add_f64 v[6:7], v[6:7], v[42:43]
	v_add_f64 v[68:69], v[70:71], v[68:69]
	v_fma_f64 v[70:71], v[205:206], s[18:19], v[110:111]
	v_add_f64 v[2:3], v[74:75], v[2:3]
	v_mul_f64 v[74:75], v[128:129], s[28:29]
	v_mul_f64 v[110:111], v[152:153], s[42:43]
	v_mul_f64 v[152:153], v[185:186], s[54:55]
	v_mul_f64 v[185:186], v[160:161], s[26:27]
	v_add_f64 v[6:7], v[6:7], v[46:47]
	v_add_f64 v[70:71], v[70:71], v[0:1]
	v_mul_f64 v[0:1], v[225:226], s[54:55]
	v_fma_f64 v[58:59], v[138:139], s[42:43], v[74:75]
	v_add_f64 v[6:7], v[6:7], v[50:51]
	v_fma_f64 v[114:115], v[211:212], s[6:7], v[0:1]
	v_fma_f64 v[0:1], v[211:212], s[6:7], -v[0:1]
	v_add_f64 v[68:69], v[114:115], v[68:69]
	v_fma_f64 v[114:115], v[112:113], s[16:17], v[104:105]
	v_add_f64 v[64:65], v[0:1], v[2:3]
	v_fma_f64 v[0:1], v[138:139], s[58:59], v[74:75]
	v_add_f64 v[2:3], v[10:11], v[108:109]
	v_fma_f64 v[104:105], v[112:113], s[16:17], -v[104:105]
	v_fma_f64 v[108:109], v[120:121], s[28:29], v[110:111]
	v_fma_f64 v[110:111], v[120:121], s[28:29], -v[110:111]
	v_mul_f64 v[138:139], v[201:202], s[8:9]
	v_add_f64 v[114:115], v[8:9], v[114:115]
	v_mul_f64 v[74:75], v[166:167], s[4:5]
	v_mul_f64 v[201:202], v[199:200], s[16:17]
	v_add_f64 v[0:1], v[0:1], v[2:3]
	v_fma_f64 v[2:3], v[144:145], s[46:47], v[4:5]
	v_add_f64 v[104:105], v[8:9], v[104:105]
	v_fma_f64 v[4:5], v[144:145], s[52:53], v[4:5]
	v_fma_f64 v[56:57], v[158:159], s[4:5], -v[138:139]
	v_add_f64 v[72:73], v[108:109], v[114:115]
	v_fma_f64 v[108:109], v[126:127], s[40:41], v[140:141]
	v_mul_f64 v[114:115], v[164:165], s[44:45]
	v_mul_f64 v[164:165], v[126:127], s[28:29]
	v_add_f64 v[0:1], v[2:3], v[0:1]
	v_fma_f64 v[2:3], v[162:163], s[38:39], v[62:63]
	v_fma_f64 v[62:63], v[162:163], s[44:45], v[62:63]
	v_mul_f64 v[162:163], v[126:127], s[16:17]
	v_fma_f64 v[126:127], v[126:127], s[40:41], -v[140:141]
	v_add_f64 v[104:105], v[110:111], v[104:105]
	v_add_f64 v[72:73], v[108:109], v[72:73]
	v_fma_f64 v[130:131], v[148:149], s[26:27], v[114:115]
	v_fma_f64 v[114:115], v[148:149], s[26:27], -v[114:115]
	v_mul_f64 v[108:109], v[160:161], s[6:7]
	v_add_f64 v[0:1], v[2:3], v[0:1]
	v_add_f64 v[2:3], v[10:11], v[106:107]
	v_fma_f64 v[60:61], v[187:188], s[48:49], v[74:75]
	v_add_f64 v[104:105], v[126:127], v[104:105]
	v_mul_f64 v[144:145], v[112:113], s[4:5]
	v_add_f64 v[72:73], v[130:131], v[72:73]
	v_fma_f64 v[130:131], v[154:155], s[6:7], v[152:153]
	v_fma_f64 v[152:153], v[154:155], s[6:7], -v[152:153]
	v_fma_f64 v[106:107], v[170:171], s[18:19], v[108:109]
	v_add_f64 v[2:3], v[58:59], v[2:3]
	v_mul_f64 v[58:59], v[215:216], s[10:11]
	v_add_f64 v[104:105], v[114:115], v[104:105]
	v_fma_f64 v[108:109], v[170:171], s[54:55], v[108:109]
	v_mul_f64 v[170:171], v[150:151], s[10:11]
	v_add_f64 v[72:73], v[130:131], v[72:73]
	v_mul_f64 v[130:131], v[231:232], s[20:21]
	v_add_f64 v[0:1], v[106:107], v[0:1]
	v_fma_f64 v[106:107], v[158:159], s[4:5], v[138:139]
	v_add_f64 v[2:3], v[4:5], v[2:3]
	v_add_f64 v[104:105], v[152:153], v[104:105]
	v_mul_f64 v[4:5], v[118:119], s[4:5]
	v_mul_f64 v[118:119], v[118:119], s[6:7]
	;; [unrolled: 1-line block ×4, first 2 shown]
	v_add_f64 v[0:1], v[60:61], v[0:1]
	v_add_f64 v[72:73], v[106:107], v[72:73]
	v_fma_f64 v[106:107], v[199:200], s[10:11], v[130:131]
	v_add_f64 v[18:19], v[56:57], v[104:105]
	buffer_load_dword v104, off, s[60:63], 0 offset:88 ; 4-byte Folded Reload
	buffer_load_dword v105, off, s[60:63], 0 offset:92 ; 4-byte Folded Reload
	v_add_f64 v[118:119], v[223:224], v[118:119]
	buffer_load_dword v20, off, s[60:63], 0 offset:56 ; 4-byte Folded Reload
	buffer_load_dword v21, off, s[60:63], 0 offset:60 ; 4-byte Folded Reload
	v_fma_f64 v[60:61], v[203:204], s[56:57], v[58:59]
	v_add_f64 v[2:3], v[62:63], v[2:3]
	v_mul_f64 v[62:63], v[120:121], s[6:7]
	v_add_f64 v[72:73], v[106:107], v[72:73]
	v_mul_f64 v[106:107], v[120:121], s[10:11]
	v_mul_f64 v[150:151], v[150:151], s[40:41]
	v_add_f64 v[118:119], v[10:11], v[118:119]
	v_mul_f64 v[120:121], v[154:155], s[26:27]
	v_add_f64 v[0:1], v[60:61], v[0:1]
	v_mul_f64 v[60:61], v[128:129], s[6:7]
	v_mul_f64 v[128:129], v[128:129], s[10:11]
	v_add_f64 v[2:3], v[108:109], v[2:3]
	v_mul_f64 v[108:109], v[136:137], s[16:17]
	v_mul_f64 v[136:137], v[136:137], s[28:29]
	;; [unrolled: 1-line block ×3, first 2 shown]
	v_add_f64 v[150:151], v[209:210], v[150:151]
	v_mul_f64 v[140:141], v[166:167], s[28:29]
	v_mul_f64 v[110:111], v[158:159], s[28:29]
	v_add_f64 v[128:129], v[217:218], v[128:129]
	v_fma_f64 v[74:75], v[187:188], s[8:9], v[74:75]
	v_mul_f64 v[187:188], v[158:159], s[26:27]
	v_add_f64 v[136:137], v[219:220], v[136:137]
	v_add_f64 v[160:161], v[213:214], v[160:161]
	v_mul_f64 v[126:127], v[215:216], s[30:31]
	v_mul_f64 v[209:210], v[215:216], s[16:17]
	v_fma_f64 v[58:59], v[203:204], s[20:21], v[58:59]
	v_add_f64 v[118:119], v[128:129], v[118:119]
	v_mul_f64 v[128:129], v[154:155], s[30:31]
	v_add_f64 v[2:3], v[74:75], v[2:3]
	v_mul_f64 v[154:155], v[229:230], s[40:41]
	v_mul_f64 v[203:204], v[229:230], s[30:31]
	;; [unrolled: 1-line block ×5, first 2 shown]
	v_add_f64 v[118:119], v[136:137], v[118:119]
	v_mul_f64 v[136:137], v[166:167], s[26:27]
	v_mul_f64 v[166:167], v[199:200], s[30:31]
	v_add_f64 v[2:3], v[58:59], v[2:3]
	v_add_f64 v[58:59], v[221:222], v[209:210]
	v_fma_f64 v[16:17], v[199:200], s[10:11], -v[130:131]
	v_fma_f64 v[14:15], v[205:206], s[36:37], v[203:204]
	v_add_f64 v[56:57], v[227:228], v[215:216]
	v_add_f64 v[118:119], v[150:151], v[118:119]
	;; [unrolled: 1-line block ×3, first 2 shown]
	v_mul_f64 v[150:151], v[211:212], s[40:41]
	v_fma_f64 v[74:75], v[205:206], s[34:35], v[203:204]
	v_fma_f64 v[207:208], v[211:212], s[30:31], v[213:214]
	v_add_f64 v[30:31], v[16:17], v[18:19]
	v_add_f64 v[118:119], v[160:161], v[118:119]
	;; [unrolled: 1-line block ×3, first 2 shown]
	v_fma_f64 v[136:137], v[211:212], s[30:31], -v[213:214]
	v_add_f64 v[58:59], v[58:59], v[118:119]
	s_waitcnt vmcnt(2)
	v_add_f64 v[4:5], v[104:105], v[4:5]
	v_add_f64 v[104:105], v[106:107], -v[174:175]
	buffer_load_dword v106, off, s[60:63], 0 offset:72 ; 4-byte Folded Reload
	buffer_load_dword v107, off, s[60:63], 0 offset:76 ; 4-byte Folded Reload
	s_waitcnt vmcnt(2)
	v_add_f64 v[20:21], v[144:145], -v[20:21]
	v_add_f64 v[4:5], v[10:11], v[4:5]
	buffer_load_dword v10, off, s[60:63], 0 offset:24 ; 4-byte Folded Reload
	buffer_load_dword v11, off, s[60:63], 0 offset:28 ; 4-byte Folded Reload
	;; [unrolled: 1-line block ×8, first 2 shown]
	v_add_f64 v[20:21], v[8:9], v[20:21]
	v_add_f64 v[8:9], v[8:9], v[22:23]
	v_add_f64 v[22:23], v[164:165], -v[179:180]
	v_add_f64 v[8:9], v[104:105], v[8:9]
	v_add_f64 v[8:9], v[22:23], v[8:9]
	v_add_f64 v[22:23], v[128:129], -v[183:184]
	s_waitcnt vmcnt(8)
	v_add_f64 v[60:61], v[106:107], v[60:61]
	s_waitcnt vmcnt(6)
	v_add_f64 v[10:11], v[62:63], -v[10:11]
	s_waitcnt vmcnt(4)
	v_add_f64 v[24:25], v[24:25], v[108:109]
	v_add_f64 v[4:5], v[60:61], v[4:5]
	s_waitcnt vmcnt(2)
	v_add_f64 v[26:27], v[162:163], -v[26:27]
	s_waitcnt vmcnt(0)
	v_add_f64 v[28:29], v[28:29], v[170:171]
	v_add_f64 v[10:11], v[10:11], v[20:21]
	v_add_f64 v[20:21], v[148:149], -v[181:182]
	v_add_f64 v[4:5], v[24:25], v[4:5]
	v_add_f64 v[24:25], v[112:113], -v[116:117]
	v_add_f64 v[10:11], v[26:27], v[10:11]
	v_add_f64 v[26:27], v[134:135], v[185:186]
	v_add_f64 v[4:5], v[28:29], v[4:5]
	v_add_f64 v[28:29], v[120:121], -v[132:133]
	v_add_f64 v[8:9], v[20:21], v[8:9]
	v_add_f64 v[20:21], v[187:188], -v[189:190]
	v_add_f64 v[10:11], v[24:25], v[10:11]
	;; [unrolled: 6-line block ×3, first 2 shown]
	v_add_f64 v[28:29], v[177:178], v[126:127]
	v_add_f64 v[4:5], v[24:25], v[4:5]
	v_add_f64 v[24:25], v[166:167], -v[172:173]
	v_add_f64 v[8:9], v[20:21], v[8:9]
	v_add_f64 v[20:21], v[193:194], v[154:155]
	;; [unrolled: 1-line block ×3, first 2 shown]
	v_add_f64 v[26:27], v[114:115], -v[197:198]
	v_add_f64 v[4:5], v[28:29], v[4:5]
	v_add_f64 v[28:29], v[150:151], -v[191:192]
	v_add_f64 v[8:9], v[22:23], v[8:9]
	v_add_f64 v[22:23], v[6:7], v[54:55]
	;; [unrolled: 1-line block ×11, first 2 shown]
	v_mul_lo_u16_e32 v0, 17, v246
	v_add_lshl_u32 v0, v247, v0, 4
	v_add_f64 v[24:25], v[207:208], v[72:73]
	ds_write_b128 v0, v[20:23]
	ds_write_b128 v0, v[16:19] offset:16
	ds_write_b128 v0, v[12:15] offset:32
	;; [unrolled: 1-line block ×16, first 2 shown]
.LBB0_7:
	s_or_b64 exec, exec, s[24:25]
	v_lshlrev_b32_e32 v0, 6, v246
	s_load_dwordx4 s[4:7], s[0:1], 0x0
	s_waitcnt lgkmcnt(0)
	; wave barrier
	s_waitcnt lgkmcnt(0)
	global_load_dwordx4 v[24:27], v0, s[2:3]
	global_load_dwordx4 v[20:23], v0, s[2:3] offset:16
	global_load_dwordx4 v[12:15], v0, s[2:3] offset:32
	;; [unrolled: 1-line block ×3, first 2 shown]
	v_add_co_u32_e64 v56, s[0:1], 34, v246
	s_movk_i32 s0, 0xf1
	v_mul_lo_u16_sdwa v1, v56, s0 dst_sel:DWORD dst_unused:UNUSED_PAD src0_sel:BYTE_0 src1_sel:DWORD
	v_lshrrev_b16_e32 v1, 12, v1
	v_mul_lo_u16_e32 v1, 17, v1
	v_sub_u16_e32 v42, v56, v1
	v_lshlrev_b16_e32 v1, 2, v42
	v_and_b32_e32 v1, 0xfc, v1
	v_lshlrev_b32_e32 v1, 4, v1
	global_load_dwordx4 v[165:168], v1, s[2:3]
	global_load_dwordx4 v[161:164], v1, s[2:3] offset:16
	global_load_dwordx4 v[157:160], v1, s[2:3] offset:32
	;; [unrolled: 1-line block ×3, first 2 shown]
	v_add_lshl_u32 v245, v247, v246, 4
	v_mov_b32_e32 v1, s3
	ds_read_b128 v[43:46], v245
	ds_read_b128 v[47:50], v245 offset:272
	ds_read_b128 v[51:54], v245 offset:1632
	;; [unrolled: 1-line block ×14, first 2 shown]
	v_add_co_u32_e64 v40, s[0:1], s2, v0
	v_addc_co_u32_e64 v41, s[0:1], 0, v1, s[0:1]
	s_mov_b32 s10, 0x134454ff
	s_mov_b32 s11, 0x3fee6f0e
	;; [unrolled: 1-line block ×10, first 2 shown]
	v_lshlrev_b32_e32 v72, 5, v246
	s_waitcnt lgkmcnt(0)
	; wave barrier
	s_waitcnt vmcnt(7) lgkmcnt(0)
	v_mul_f64 v[0:1], v[75:76], v[26:27]
	s_waitcnt vmcnt(6)
	v_mul_f64 v[4:5], v[53:54], v[22:23]
	s_waitcnt vmcnt(5)
	;; [unrolled: 2-line block ×3, first 2 shown]
	v_mul_f64 v[111:112], v[63:64], v[10:11]
	v_mul_f64 v[2:3], v[73:74], v[26:27]
	;; [unrolled: 1-line block ×9, first 2 shown]
	v_fma_f64 v[0:1], v[73:74], v[24:25], -v[0:1]
	v_fma_f64 v[4:5], v[51:52], v[20:21], -v[4:5]
	;; [unrolled: 1-line block ×4, first 2 shown]
	v_mul_f64 v[123:124], v[99:100], v[14:15]
	v_mul_f64 v[125:126], v[97:98], v[14:15]
	;; [unrolled: 1-line block ×4, first 2 shown]
	s_waitcnt vmcnt(3)
	v_mul_f64 v[131:132], v[87:88], v[167:168]
	v_mul_f64 v[133:134], v[85:86], v[167:168]
	s_waitcnt vmcnt(2)
	v_mul_f64 v[135:136], v[95:96], v[163:164]
	v_fma_f64 v[2:3], v[75:76], v[24:25], v[2:3]
	v_fma_f64 v[6:7], v[53:54], v[20:21], v[6:7]
	;; [unrolled: 1-line block ×4, first 2 shown]
	v_fma_f64 v[69:70], v[81:82], v[24:25], -v[115:116]
	v_fma_f64 v[75:76], v[83:84], v[24:25], v[117:118]
	v_fma_f64 v[83:84], v[57:58], v[20:21], -v[119:120]
	v_fma_f64 v[91:92], v[59:60], v[20:21], v[121:122]
	v_add_f64 v[57:58], v[43:44], v[0:1]
	v_add_f64 v[59:60], v[4:5], v[51:52]
	;; [unrolled: 1-line block ×3, first 2 shown]
	v_mul_f64 v[137:138], v[93:94], v[163:164]
	v_fma_f64 v[89:90], v[97:98], v[12:13], -v[123:124]
	v_fma_f64 v[97:98], v[99:100], v[12:13], v[125:126]
	v_fma_f64 v[73:74], v[65:66], v[8:9], -v[127:128]
	v_fma_f64 v[99:100], v[67:68], v[8:9], v[129:130]
	;; [unrolled: 2-line block ×3, first 2 shown]
	v_fma_f64 v[113:114], v[93:94], v[161:162], -v[135:136]
	v_add_f64 v[65:66], v[2:3], -v[63:64]
	v_add_f64 v[67:68], v[6:7], -v[53:54]
	;; [unrolled: 1-line block ×3, first 2 shown]
	v_add_f64 v[57:58], v[57:58], v[4:5]
	v_fma_f64 v[59:60], v[59:60], -0.5, v[43:44]
	v_add_f64 v[87:88], v[61:62], -v[51:52]
	v_add_f64 v[93:94], v[45:46], v[2:3]
	v_add_f64 v[115:116], v[6:7], v[53:54]
	v_fma_f64 v[43:44], v[81:82], -0.5, v[43:44]
	v_add_f64 v[117:118], v[4:5], -v[0:1]
	v_add_f64 v[81:82], v[51:52], -v[61:62]
	v_add_f64 v[57:58], v[57:58], v[51:52]
	v_fma_f64 v[119:120], v[65:66], s[10:11], v[59:60]
	v_add_f64 v[85:86], v[85:86], v[87:88]
	v_add_f64 v[87:88], v[93:94], v[6:7]
	v_fma_f64 v[93:94], v[115:116], -0.5, v[45:46]
	v_fma_f64 v[59:60], v[65:66], s[16:17], v[59:60]
	v_fma_f64 v[115:116], v[67:68], s[16:17], v[43:44]
	;; [unrolled: 1-line block ×3, first 2 shown]
	v_add_f64 v[43:44], v[57:58], v[61:62]
	v_fma_f64 v[57:58], v[67:68], s[8:9], v[119:120]
	v_add_f64 v[0:1], v[0:1], -v[61:62]
	v_add_f64 v[4:5], v[4:5], -v[51:52]
	s_waitcnt vmcnt(1)
	v_mul_f64 v[139:140], v[103:104], v[159:160]
	v_fma_f64 v[59:60], v[67:68], s[0:1], v[59:60]
	v_fma_f64 v[61:62], v[65:66], s[8:9], v[115:116]
	v_add_f64 v[115:116], v[2:3], v[63:64]
	v_add_f64 v[67:68], v[117:118], v[81:82]
	v_fma_f64 v[65:66], v[65:66], s[0:1], v[121:122]
	v_add_f64 v[81:82], v[87:88], v[53:54]
	v_fma_f64 v[87:88], v[0:1], s[16:17], v[93:94]
	v_fma_f64 v[51:52], v[85:86], s[18:19], v[57:58]
	;; [unrolled: 1-line block ×3, first 2 shown]
	v_add_f64 v[85:86], v[63:64], -v[53:54]
	v_fma_f64 v[59:60], v[115:116], -0.5, v[45:46]
	v_fma_f64 v[61:62], v[67:68], s[18:19], v[61:62]
	v_fma_f64 v[65:66], v[67:68], s[18:19], v[65:66]
	v_add_f64 v[45:46], v[81:82], v[63:64]
	v_fma_f64 v[67:68], v[4:5], s[0:1], v[87:88]
	v_add_f64 v[81:82], v[2:3], -v[6:7]
	v_add_f64 v[87:88], v[47:48], v[69:70]
	v_fma_f64 v[93:94], v[0:1], s[10:11], v[93:94]
	v_add_f64 v[115:116], v[83:84], v[89:90]
	v_fma_f64 v[117:118], v[4:5], s[10:11], v[59:60]
	v_add_f64 v[2:3], v[6:7], -v[2:3]
	v_add_f64 v[6:7], v[53:54], -v[63:64]
	v_fma_f64 v[53:54], v[4:5], s[16:17], v[59:60]
	v_add_f64 v[59:60], v[81:82], v[85:86]
	v_add_f64 v[63:64], v[87:88], v[83:84]
	v_fma_f64 v[4:5], v[4:5], s[8:9], v[93:94]
	v_fma_f64 v[81:82], v[115:116], -0.5, v[47:48]
	v_add_f64 v[85:86], v[75:76], -v[99:100]
	v_fma_f64 v[87:88], v[0:1], s[0:1], v[117:118]
	v_add_f64 v[2:3], v[2:3], v[6:7]
	v_fma_f64 v[0:1], v[0:1], s[8:9], v[53:54]
	v_add_f64 v[6:7], v[69:70], v[73:74]
	v_add_f64 v[93:94], v[63:64], v[89:90]
	v_fma_f64 v[53:54], v[59:60], s[18:19], v[67:68]
	v_fma_f64 v[59:60], v[59:60], s[18:19], v[4:5]
	;; [unrolled: 1-line block ×3, first 2 shown]
	v_add_f64 v[115:116], v[91:92], -v[97:98]
	v_fma_f64 v[63:64], v[2:3], s[18:19], v[87:88]
	v_fma_f64 v[67:68], v[2:3], s[18:19], v[0:1]
	v_fma_f64 v[0:1], v[6:7], -0.5, v[47:48]
	v_add_f64 v[2:3], v[69:70], -v[83:84]
	v_add_f64 v[6:7], v[73:74], -v[89:90]
	v_add_f64 v[47:48], v[93:94], v[73:74]
	v_fma_f64 v[81:82], v[85:86], s[16:17], v[81:82]
	v_fma_f64 v[4:5], v[115:116], s[8:9], v[4:5]
	v_add_f64 v[87:88], v[49:50], v[75:76]
	v_add_f64 v[93:94], v[91:92], v[97:98]
	v_fma_f64 v[117:118], v[115:116], s[16:17], v[0:1]
	v_add_f64 v[119:120], v[83:84], -v[69:70]
	v_add_f64 v[121:122], v[89:90], -v[73:74]
	v_add_f64 v[2:3], v[2:3], v[6:7]
	v_fma_f64 v[0:1], v[115:116], s[10:11], v[0:1]
	v_mul_f64 v[141:142], v[101:102], v[159:160]
	v_fma_f64 v[101:102], v[101:102], v[157:158], -v[139:140]
	v_fma_f64 v[6:7], v[115:116], s[0:1], v[81:82]
	v_add_f64 v[87:88], v[87:88], v[91:92]
	v_fma_f64 v[93:94], v[93:94], -0.5, v[49:50]
	v_add_f64 v[69:70], v[69:70], -v[73:74]
	v_fma_f64 v[115:116], v[85:86], s[8:9], v[117:118]
	v_add_f64 v[117:118], v[119:120], v[121:122]
	v_fma_f64 v[73:74], v[2:3], s[18:19], v[4:5]
	v_fma_f64 v[0:1], v[85:86], s[0:1], v[0:1]
	v_add_f64 v[4:5], v[75:76], v[99:100]
	s_waitcnt vmcnt(0)
	v_mul_f64 v[145:146], v[105:106], v[155:156]
	v_fma_f64 v[81:82], v[2:3], s[18:19], v[6:7]
	v_add_f64 v[2:3], v[87:88], v[97:98]
	v_fma_f64 v[6:7], v[69:70], s[16:17], v[93:94]
	v_add_f64 v[83:84], v[83:84], -v[89:90]
	v_fma_f64 v[85:86], v[117:118], s[18:19], v[115:116]
	v_add_f64 v[87:88], v[113:114], v[101:102]
	v_add_f64 v[115:116], v[75:76], -v[91:92]
	v_add_f64 v[119:120], v[99:100], -v[97:98]
	v_fma_f64 v[89:90], v[117:118], s[18:19], v[0:1]
	v_fma_f64 v[0:1], v[4:5], -0.5, v[49:50]
	v_mul_f64 v[143:144], v[107:108], v[155:156]
	v_fma_f64 v[107:108], v[107:108], v[153:154], v[145:146]
	v_add_f64 v[4:5], v[77:78], v[109:110]
	v_add_f64 v[49:50], v[2:3], v[99:100]
	v_fma_f64 v[2:3], v[83:84], s[0:1], v[6:7]
	v_fma_f64 v[6:7], v[87:88], -0.5, v[77:78]
	v_add_f64 v[87:88], v[115:116], v[119:120]
	v_fma_f64 v[93:94], v[69:70], s[10:11], v[93:94]
	v_fma_f64 v[115:116], v[83:84], s[10:11], v[0:1]
	v_add_f64 v[75:76], v[91:92], -v[75:76]
	v_add_f64 v[91:92], v[97:98], -v[99:100]
	v_fma_f64 v[0:1], v[83:84], s[16:17], v[0:1]
	v_fma_f64 v[95:96], v[95:96], v[161:162], v[137:138]
	;; [unrolled: 1-line block ×3, first 2 shown]
	v_fma_f64 v[105:106], v[105:106], v[153:154], -v[143:144]
	v_add_f64 v[117:118], v[111:112], -v[107:108]
	v_add_f64 v[4:5], v[4:5], v[113:114]
	v_fma_f64 v[83:84], v[83:84], s[8:9], v[93:94]
	v_fma_f64 v[115:116], v[69:70], s[0:1], v[115:116]
	v_add_f64 v[91:92], v[75:76], v[91:92]
	v_fma_f64 v[0:1], v[69:70], s[8:9], v[0:1]
	v_add_f64 v[99:100], v[95:96], -v[103:104]
	v_add_f64 v[119:120], v[109:110], -v[113:114]
	v_fma_f64 v[97:98], v[117:118], s[10:11], v[6:7]
	v_add_f64 v[121:122], v[105:106], -v[101:102]
	v_add_f64 v[93:94], v[109:110], v[105:106]
	v_add_f64 v[4:5], v[4:5], v[101:102]
	v_fma_f64 v[75:76], v[87:88], s[18:19], v[2:3]
	v_fma_f64 v[83:84], v[87:88], s[18:19], v[83:84]
	;; [unrolled: 1-line block ×4, first 2 shown]
	v_add_f64 v[0:1], v[95:96], v[103:104]
	v_fma_f64 v[69:70], v[99:100], s[8:9], v[97:98]
	v_add_f64 v[97:98], v[119:120], v[121:122]
	v_add_f64 v[115:116], v[111:112], v[107:108]
	v_fma_f64 v[2:3], v[93:94], -0.5, v[77:78]
	v_add_f64 v[77:78], v[4:5], v[105:106]
	v_fma_f64 v[4:5], v[117:118], s[16:17], v[6:7]
	v_add_f64 v[121:122], v[79:80], v[111:112]
	v_add_f64 v[119:120], v[101:102], -v[105:106]
	v_fma_f64 v[0:1], v[0:1], -0.5, v[79:80]
	v_add_f64 v[105:106], v[109:110], -v[105:106]
	v_fma_f64 v[93:94], v[97:98], s[18:19], v[69:70]
	v_add_f64 v[69:70], v[113:114], -v[109:110]
	v_add_f64 v[101:102], v[113:114], -v[101:102]
	v_fma_f64 v[79:80], v[115:116], -0.5, v[79:80]
	v_fma_f64 v[6:7], v[99:100], s[16:17], v[2:3]
	v_fma_f64 v[4:5], v[99:100], s[0:1], v[4:5]
	v_fma_f64 v[2:3], v[99:100], s[10:11], v[2:3]
	v_add_f64 v[99:100], v[121:122], v[95:96]
	v_fma_f64 v[109:110], v[105:106], s[16:17], v[0:1]
	v_add_f64 v[113:114], v[111:112], -v[95:96]
	v_add_f64 v[115:116], v[107:108], -v[103:104]
	v_add_f64 v[69:70], v[69:70], v[119:120]
	v_fma_f64 v[119:120], v[101:102], s[10:11], v[79:80]
	v_add_f64 v[95:96], v[95:96], -v[111:112]
	v_add_f64 v[111:112], v[103:104], -v[107:108]
	v_fma_f64 v[79:80], v[101:102], s[16:17], v[79:80]
	v_fma_f64 v[0:1], v[105:106], s[10:11], v[0:1]
	v_add_f64 v[99:100], v[99:100], v[103:104]
	v_fma_f64 v[103:104], v[101:102], s[0:1], v[109:110]
	v_add_f64 v[109:110], v[113:114], v[115:116]
	v_fma_f64 v[6:7], v[117:118], s[8:9], v[6:7]
	v_fma_f64 v[113:114], v[105:106], s[0:1], v[119:120]
	v_add_f64 v[111:112], v[95:96], v[111:112]
	v_fma_f64 v[2:3], v[117:118], s[0:1], v[2:3]
	v_fma_f64 v[115:116], v[105:106], s[8:9], v[79:80]
	;; [unrolled: 1-line block ×3, first 2 shown]
	v_add_f64 v[79:80], v[99:100], v[107:108]
	v_fma_f64 v[95:96], v[109:110], s[18:19], v[103:104]
	v_fma_f64 v[101:102], v[69:70], s[18:19], v[6:7]
	v_fma_f64 v[97:98], v[97:98], s[18:19], v[4:5]
	v_fma_f64 v[103:104], v[111:112], s[18:19], v[113:114]
	v_fma_f64 v[105:106], v[69:70], s[18:19], v[2:3]
	v_fma_f64 v[107:108], v[111:112], s[18:19], v[115:116]
	v_fma_f64 v[99:100], v[109:110], s[18:19], v[0:1]
	v_and_b32_e32 v0, 0xff, v42
	v_add_lshl_u32 v169, v247, v0, 4
	v_sub_co_u32_e64 v0, s[0:1], v40, v72
	v_subbrev_co_u32_e64 v1, s[0:1], 0, v41, s[0:1]
	ds_write_b128 v245, v[43:46]
	ds_write_b128 v245, v[51:54] offset:272
	ds_write_b128 v245, v[61:64] offset:544
	;; [unrolled: 1-line block ×9, first 2 shown]
	buffer_store_dword v247, off, s[60:63], 0 offset:16 ; 4-byte Folded Spill
	ds_write_b128 v169, v[77:80] offset:2720
	ds_write_b128 v169, v[93:96] offset:2992
	;; [unrolled: 1-line block ×5, first 2 shown]
	s_waitcnt lgkmcnt(0)
	; wave barrier
	s_waitcnt lgkmcnt(0)
	global_load_dwordx4 v[177:180], v[0:1], off offset:1088
	global_load_dwordx4 v[170:173], v[0:1], off offset:1104
	v_add_u32_e32 v0, 0x220, v72
	global_load_dwordx4 v[52:55], v0, s[2:3] offset:1088
	global_load_dwordx4 v[48:51], v0, s[2:3] offset:1104
	v_lshlrev_b32_e32 v0, 5, v56
	global_load_dwordx4 v[60:63], v0, s[2:3] offset:1088
	global_load_dwordx4 v[56:59], v0, s[2:3] offset:1104
	v_add_u32_e32 v0, 0x660, v72
	global_load_dwordx4 v[68:71], v0, s[2:3] offset:1088
	global_load_dwordx4 v[64:67], v0, s[2:3] offset:1104
	v_add_u32_e32 v0, 0x880, v72
	global_load_dwordx4 v[76:79], v0, s[2:3] offset:1088
	global_load_dwordx4 v[72:75], v0, s[2:3] offset:1104
	ds_read_b128 v[80:83], v245 offset:1360
	ds_read_b128 v[84:87], v245
	ds_read_b128 v[92:95], v245 offset:272
	ds_read_b128 v[88:91], v245 offset:2720
	;; [unrolled: 1-line block ×13, first 2 shown]
	s_mov_b32 s0, 0xe8584caa
	s_mov_b32 s1, 0x3febb67a
	;; [unrolled: 1-line block ×4, first 2 shown]
	v_lshl_add_u32 v247, v246, 4, v255
	s_waitcnt vmcnt(9) lgkmcnt(14)
	v_mul_f64 v[0:1], v[82:83], v[179:180]
	v_mul_f64 v[2:3], v[80:81], v[179:180]
	s_waitcnt vmcnt(8) lgkmcnt(11)
	v_mul_f64 v[4:5], v[90:91], v[172:173]
	v_mul_f64 v[6:7], v[88:89], v[172:173]
	;; [unrolled: 3-line block ×3, first 2 shown]
	v_fma_f64 v[0:1], v[80:81], v[177:178], -v[0:1]
	v_fma_f64 v[2:3], v[82:83], v[177:178], v[2:3]
	s_waitcnt vmcnt(6)
	v_mul_f64 v[80:81], v[98:99], v[50:51]
	v_fma_f64 v[4:5], v[88:89], v[170:171], -v[4:5]
	v_mul_f64 v[82:83], v[96:97], v[50:51]
	s_waitcnt vmcnt(5) lgkmcnt(8)
	v_mul_f64 v[88:89], v[106:107], v[62:63]
	v_fma_f64 v[6:7], v[90:91], v[170:171], v[6:7]
	v_fma_f64 v[90:91], v[102:103], v[52:53], v[142:143]
	v_mul_f64 v[102:103], v[104:105], v[62:63]
	s_waitcnt vmcnt(3) lgkmcnt(2)
	v_mul_f64 v[142:143], v[132:133], v[70:71]
	v_fma_f64 v[96:97], v[96:97], v[48:49], -v[80:81]
	v_mul_f64 v[80:81], v[114:115], v[58:59]
	v_fma_f64 v[98:99], v[98:99], v[48:49], v[82:83]
	v_mul_f64 v[82:83], v[130:131], v[70:71]
	v_fma_f64 v[104:105], v[104:105], v[60:61], -v[88:89]
	s_waitcnt vmcnt(2)
	v_mul_f64 v[88:89], v[122:123], v[66:67]
	v_fma_f64 v[100:101], v[100:101], v[52:53], -v[124:125]
	v_mul_f64 v[124:125], v[112:113], v[58:59]
	v_fma_f64 v[106:107], v[106:107], v[60:61], v[102:103]
	v_fma_f64 v[112:113], v[112:113], v[56:57], -v[80:81]
	v_fma_f64 v[130:131], v[130:131], v[68:69], -v[142:143]
	v_mul_f64 v[80:81], v[120:121], v[66:67]
	v_fma_f64 v[132:133], v[132:133], v[68:69], v[82:83]
	s_waitcnt vmcnt(1) lgkmcnt(1)
	v_mul_f64 v[82:83], v[136:137], v[78:79]
	v_add_f64 v[102:103], v[0:1], v[4:5]
	v_fma_f64 v[142:143], v[120:121], v[64:65], -v[88:89]
	v_mul_f64 v[88:89], v[134:135], v[78:79]
	s_waitcnt vmcnt(0) lgkmcnt(0)
	v_mul_f64 v[120:121], v[140:141], v[74:75]
	v_fma_f64 v[114:115], v[114:115], v[56:57], v[124:125]
	v_mul_f64 v[124:125], v[138:139], v[74:75]
	v_fma_f64 v[122:123], v[122:123], v[64:65], v[80:81]
	v_add_f64 v[80:81], v[84:85], v[0:1]
	v_fma_f64 v[134:135], v[134:135], v[76:77], -v[82:83]
	v_fma_f64 v[82:83], v[102:103], -0.5, v[84:85]
	v_add_f64 v[102:103], v[2:3], -v[6:7]
	v_fma_f64 v[136:137], v[136:137], v[76:77], v[88:89]
	v_fma_f64 v[138:139], v[138:139], v[72:73], -v[120:121]
	v_add_f64 v[88:89], v[2:3], v[6:7]
	v_add_f64 v[2:3], v[86:87], v[2:3]
	;; [unrolled: 1-line block ×3, first 2 shown]
	v_fma_f64 v[140:141], v[140:141], v[72:73], v[124:125]
	v_add_f64 v[80:81], v[80:81], v[4:5]
	v_fma_f64 v[84:85], v[102:103], s[0:1], v[82:83]
	v_add_f64 v[0:1], v[0:1], -v[4:5]
	v_add_f64 v[4:5], v[92:93], v[100:101]
	v_fma_f64 v[124:125], v[88:89], -0.5, v[86:87]
	v_fma_f64 v[88:89], v[102:103], s[2:3], v[82:83]
	v_add_f64 v[82:83], v[2:3], v[6:7]
	v_add_f64 v[2:3], v[90:91], v[98:99]
	v_fma_f64 v[6:7], v[120:121], -0.5, v[92:93]
	v_add_f64 v[102:103], v[90:91], -v[98:99]
	v_add_f64 v[120:121], v[94:95], v[90:91]
	v_add_f64 v[92:93], v[4:5], v[96:97]
	v_fma_f64 v[86:87], v[0:1], s[2:3], v[124:125]
	v_fma_f64 v[90:91], v[0:1], s[0:1], v[124:125]
	v_add_f64 v[0:1], v[104:105], v[112:113]
	v_fma_f64 v[2:3], v[2:3], -0.5, v[94:95]
	v_add_f64 v[4:5], v[100:101], -v[96:97]
	v_fma_f64 v[96:97], v[102:103], s[0:1], v[6:7]
	v_fma_f64 v[100:101], v[102:103], s[2:3], v[6:7]
	v_add_f64 v[6:7], v[106:107], v[114:115]
	v_add_f64 v[94:95], v[120:121], v[98:99]
	;; [unrolled: 1-line block ×3, first 2 shown]
	v_fma_f64 v[0:1], v[0:1], -0.5, v[108:109]
	v_add_f64 v[124:125], v[106:107], -v[114:115]
	v_fma_f64 v[98:99], v[4:5], s[2:3], v[2:3]
	v_add_f64 v[144:145], v[130:131], v[142:143]
	v_fma_f64 v[102:103], v[4:5], s[0:1], v[2:3]
	v_add_f64 v[2:3], v[110:111], v[106:107]
	v_fma_f64 v[4:5], v[6:7], -0.5, v[110:111]
	v_add_f64 v[6:7], v[104:105], -v[112:113]
	v_add_f64 v[104:105], v[120:121], v[112:113]
	v_fma_f64 v[108:109], v[124:125], s[0:1], v[0:1]
	v_add_f64 v[120:121], v[116:117], v[130:131]
	v_fma_f64 v[144:145], v[144:145], -0.5, v[116:117]
	v_add_f64 v[146:147], v[132:133], -v[122:123]
	v_fma_f64 v[112:113], v[124:125], s[2:3], v[0:1]
	v_add_f64 v[106:107], v[2:3], v[114:115]
	v_fma_f64 v[110:111], v[6:7], s[2:3], v[4:5]
	v_add_f64 v[0:1], v[132:133], v[122:123]
	;; [unrolled: 2-line block ×3, first 2 shown]
	v_add_f64 v[4:5], v[136:137], v[140:141]
	v_add_f64 v[116:117], v[120:121], v[142:143]
	v_fma_f64 v[120:121], v[146:147], s[0:1], v[144:145]
	v_fma_f64 v[124:125], v[146:147], s[2:3], v[144:145]
	v_add_f64 v[6:7], v[118:119], v[132:133]
	v_fma_f64 v[0:1], v[0:1], -0.5, v[118:119]
	v_add_f64 v[130:131], v[130:131], -v[142:143]
	v_add_f64 v[132:133], v[126:127], v[134:135]
	v_fma_f64 v[2:3], v[2:3], -0.5, v[126:127]
	v_add_f64 v[142:143], v[136:137], -v[140:141]
	;; [unrolled: 3-line block ×3, first 2 shown]
	v_add_f64 v[118:119], v[6:7], v[122:123]
	v_fma_f64 v[122:123], v[130:131], s[2:3], v[0:1]
	v_fma_f64 v[126:127], v[130:131], s[0:1], v[0:1]
	v_add_f64 v[128:129], v[132:133], v[138:139]
	v_fma_f64 v[132:133], v[142:143], s[0:1], v[2:3]
	v_fma_f64 v[136:137], v[142:143], s[2:3], v[2:3]
	;; [unrolled: 3-line block ×3, first 2 shown]
	v_add_u32_e32 v140, v248, v255
	ds_write_b128 v247, v[80:83]
	ds_write_b128 v247, v[84:87] offset:1360
	ds_write_b128 v247, v[88:91] offset:2720
	;; [unrolled: 1-line block ×14, first 2 shown]
	s_waitcnt lgkmcnt(0)
	; wave barrier
	s_waitcnt lgkmcnt(0)
	s_and_saveexec_b64 s[0:1], vcc
	s_cbranch_execz .LBB0_9
; %bb.8:
	global_load_dwordx4 v[145:148], v248, s[12:13] offset:4080
	ds_read_b128 v[141:144], v247
	s_add_u32 s2, s12, 0xff0
	s_addc_u32 s3, s13, 0
	s_waitcnt vmcnt(0) lgkmcnt(0)
	v_mul_f64 v[0:1], v[143:144], v[147:148]
	v_fma_f64 v[149:150], v[141:142], v[145:146], -v[0:1]
	v_mul_f64 v[0:1], v[141:142], v[147:148]
	v_fma_f64 v[151:152], v[143:144], v[145:146], v[0:1]
	global_load_dwordx4 v[145:148], v248, s[2:3] offset:240
	ds_read_b128 v[141:144], v247 offset:240
	ds_write_b128 v247, v[149:152]
	s_waitcnt vmcnt(0) lgkmcnt(1)
	v_mul_f64 v[0:1], v[143:144], v[147:148]
	v_fma_f64 v[149:150], v[141:142], v[145:146], -v[0:1]
	v_mul_f64 v[0:1], v[141:142], v[147:148]
	v_fma_f64 v[151:152], v[143:144], v[145:146], v[0:1]
	global_load_dwordx4 v[145:148], v248, s[2:3] offset:480
	ds_read_b128 v[141:144], v247 offset:480
	ds_write_b128 v247, v[149:152] offset:240
	s_waitcnt vmcnt(0) lgkmcnt(1)
	v_mul_f64 v[0:1], v[143:144], v[147:148]
	v_fma_f64 v[149:150], v[141:142], v[145:146], -v[0:1]
	v_mul_f64 v[0:1], v[141:142], v[147:148]
	v_fma_f64 v[151:152], v[143:144], v[145:146], v[0:1]
	global_load_dwordx4 v[145:148], v248, s[2:3] offset:720
	ds_read_b128 v[141:144], v247 offset:720
	ds_write_b128 v247, v[149:152] offset:480
	;; [unrolled: 8-line block ×15, first 2 shown]
	s_waitcnt vmcnt(0) lgkmcnt(1)
	v_mul_f64 v[0:1], v[143:144], v[147:148]
	v_fma_f64 v[149:150], v[141:142], v[145:146], -v[0:1]
	v_mul_f64 v[0:1], v[141:142], v[147:148]
	v_fma_f64 v[151:152], v[143:144], v[145:146], v[0:1]
	ds_write_b128 v247, v[149:152] offset:3840
.LBB0_9:
	s_or_b64 exec, exec, s[0:1]
	s_waitcnt lgkmcnt(0)
	; wave barrier
	s_waitcnt lgkmcnt(0)
	s_and_saveexec_b64 s[0:1], vcc
	s_cbranch_execz .LBB0_11
; %bb.10:
	ds_read_b128 v[80:83], v247
	ds_read_b128 v[84:87], v247 offset:240
	ds_read_b128 v[88:91], v247 offset:480
	;; [unrolled: 1-line block ×16, first 2 shown]
.LBB0_11:
	s_or_b64 exec, exec, s[0:1]
	v_add_u32_e32 v142, 0x220, v140
	v_add_u32_e32 v141, 0x330, v140
	;; [unrolled: 1-line block ×3, first 2 shown]
	s_waitcnt lgkmcnt(0)
	; wave barrier
	s_waitcnt lgkmcnt(0)
	s_and_saveexec_b64 s[0:1], vcc
	s_cbranch_execz .LBB0_13
; %bb.12:
	v_add_f64 v[2:3], v[112:113], -v[116:117]
	v_add_f64 v[18:19], v[84:85], -v[249:250]
	s_mov_b32 s50, 0xeb564b22
	s_mov_b32 s16, 0xacd6c6b4
	;; [unrolled: 1-line block ×4, first 2 shown]
	v_add_f64 v[181:182], v[88:89], -v[238:239]
	v_add_f64 v[195:196], v[86:87], v[251:252]
	v_mov_b32_e32 v33, v3
	v_mul_f64 v[0:1], v[2:3], s[50:51]
	v_mov_b32_e32 v32, v2
	v_mul_f64 v[2:3], v[18:19], s[16:17]
	s_mov_b32 s38, 0x5d8e7cdc
	s_mov_b32 s2, 0x7faef3
	;; [unrolled: 1-line block ×4, first 2 shown]
	v_add_f64 v[36:37], v[92:93], -v[136:137]
	v_mul_f64 v[4:5], v[181:182], s[38:39]
	v_add_f64 v[191:192], v[90:91], v[240:241]
	v_fma_f64 v[6:7], v[195:196], s[2:3], v[2:3]
	s_mov_b32 s22, 0x4363dd80
	s_mov_b32 s18, 0x370991
	;; [unrolled: 1-line block ×4, first 2 shown]
	buffer_store_dword v177, off, s[60:63], 0 offset:112 ; 4-byte Folded Spill
	s_nop 0
	buffer_store_dword v178, off, s[60:63], 0 offset:116 ; 4-byte Folded Spill
	buffer_store_dword v179, off, s[60:63], 0 offset:120 ; 4-byte Folded Spill
	;; [unrolled: 1-line block ×3, first 2 shown]
	v_add_f64 v[34:35], v[96:97], -v[132:133]
	buffer_store_dword v140, off, s[60:63], 0 offset:128 ; 4-byte Folded Spill
	buffer_store_dword v141, off, s[60:63], 0 offset:132 ; 4-byte Folded Spill
	v_mul_f64 v[140:141], v[36:37], s[22:23]
	v_add_f64 v[193:194], v[94:95], v[138:139]
	buffer_store_dword v142, off, s[60:63], 0 offset:136 ; 4-byte Folded Spill
	v_fma_f64 v[142:143], v[191:192], s[18:19], v[4:5]
	v_add_f64 v[6:7], v[82:83], v[6:7]
	s_mov_b32 s46, 0x2a9d6da3
	s_mov_b32 s8, 0x910ea3b9
	;; [unrolled: 1-line block ×4, first 2 shown]
	v_add_f64 v[30:31], v[100:101], -v[128:129]
	v_mul_f64 v[144:145], v[34:35], s[46:47]
	v_add_f64 v[189:190], v[98:99], v[134:135]
	v_fma_f64 v[146:147], v[193:194], s[8:9], v[140:141]
	v_add_f64 v[6:7], v[142:143], v[6:7]
	s_mov_b32 s24, 0x6c9a05f6
	s_mov_b32 s20, 0x75d4884
	;; [unrolled: 1-line block ×4, first 2 shown]
	v_add_f64 v[16:17], v[104:105], -v[124:125]
	v_mul_f64 v[142:143], v[30:31], s[24:25]
	v_add_f64 v[187:188], v[102:103], v[130:131]
	v_fma_f64 v[148:149], v[189:190], s[20:21], v[144:145]
	v_add_f64 v[6:7], v[146:147], v[6:7]
	s_mov_b32 s42, 0x7c9e640b
	s_mov_b32 s10, 0x6ed5f1bb
	v_mov_b32_e32 v43, v37
	s_mov_b32 s43, 0x3feca52d
	s_mov_b32 s11, 0xbfe348c8
	v_mov_b32_e32 v42, v36
	v_mul_f64 v[146:147], v[16:17], s[42:43]
	v_add_f64 v[185:186], v[106:107], v[126:127]
	v_fma_f64 v[150:151], v[187:188], s[10:11], v[142:143]
	v_add_f64 v[6:7], v[148:149], v[6:7]
	v_add_f64 v[36:37], v[86:87], -v[251:252]
	v_mov_b32_e32 v41, v35
	v_mov_b32_e32 v40, v34
	;; [unrolled: 1-line block ×3, first 2 shown]
	s_mov_b32 s34, 0x2b2883cd
	v_mov_b32_e32 v34, v30
	v_mov_b32_e32 v31, v17
	s_mov_b32 s35, 0x3fdc86fa
	buffer_store_dword v153, off, s[60:63], 0 offset:24 ; 4-byte Folded Spill
	s_nop 0
	buffer_store_dword v154, off, s[60:63], 0 offset:28 ; 4-byte Folded Spill
	buffer_store_dword v155, off, s[60:63], 0 offset:32 ; 4-byte Folded Spill
	;; [unrolled: 1-line block ×3, first 2 shown]
	v_mov_b32_e32 v30, v16
	v_fma_f64 v[152:153], v[185:186], s[34:35], v[146:147]
	v_add_f64 v[6:7], v[150:151], v[6:7]
	v_add_f64 v[16:17], v[90:91], -v[240:241]
	v_add_f64 v[207:208], v[84:85], v[249:250]
	v_mul_f64 v[150:151], v[36:37], s[16:17]
	v_mov_b32_e32 v45, v37
	buffer_store_dword v157, off, s[60:63], 0 offset:40 ; 4-byte Folded Spill
	s_nop 0
	buffer_store_dword v158, off, s[60:63], 0 offset:44 ; 4-byte Folded Spill
	buffer_store_dword v159, off, s[60:63], 0 offset:48 ; 4-byte Folded Spill
	;; [unrolled: 1-line block ×3, first 2 shown]
	v_mov_b32_e32 v44, v36
	v_add_f64 v[36:37], v[94:95], -v[138:139]
	v_add_f64 v[6:7], v[152:153], v[6:7]
	v_add_f64 v[205:206], v[88:89], v[238:239]
	v_mul_f64 v[152:153], v[16:17], s[38:39]
	v_fma_f64 v[156:157], v[207:208], s[2:3], -v[150:151]
	buffer_store_dword v161, off, s[60:63], 0 offset:56 ; 4-byte Folded Spill
	s_nop 0
	buffer_store_dword v162, off, s[60:63], 0 offset:60 ; 4-byte Folded Spill
	buffer_store_dword v163, off, s[60:63], 0 offset:64 ; 4-byte Folded Spill
	;; [unrolled: 1-line block ×3, first 2 shown]
	v_fma_f64 v[2:3], v[195:196], s[2:3], -v[2:3]
	v_add_f64 v[219:220], v[98:99], -v[134:135]
	v_add_f64 v[215:216], v[92:93], v[136:137]
	v_mul_f64 v[158:159], v[36:37], s[22:23]
	buffer_store_dword v165, off, s[60:63], 0 offset:72 ; 4-byte Folded Spill
	s_nop 0
	buffer_store_dword v166, off, s[60:63], 0 offset:76 ; 4-byte Folded Spill
	buffer_store_dword v167, off, s[60:63], 0 offset:80 ; 4-byte Folded Spill
	;; [unrolled: 1-line block ×3, first 2 shown]
	v_fma_f64 v[160:161], v[205:206], s[18:19], -v[152:153]
	v_add_f64 v[156:157], v[80:81], v[156:157]
	v_fma_f64 v[4:5], v[191:192], s[18:19], -v[4:5]
	v_add_f64 v[2:3], v[82:83], v[2:3]
	v_add_f64 v[203:204], v[102:103], -v[130:131]
	v_fma_f64 v[150:151], v[207:208], s[2:3], v[150:151]
	v_add_f64 v[229:230], v[96:97], v[132:133]
	v_mul_f64 v[162:163], v[219:220], s[46:47]
	v_fma_f64 v[164:165], v[215:216], s[8:9], -v[158:159]
	v_add_f64 v[156:157], v[160:161], v[156:157]
	v_add_f64 v[213:214], v[106:107], -v[126:127]
	v_fma_f64 v[140:141], v[193:194], s[8:9], -v[140:141]
	v_add_f64 v[2:3], v[4:5], v[2:3]
	v_fma_f64 v[4:5], v[205:206], s[18:19], v[152:153]
	v_add_f64 v[150:151], v[80:81], v[150:151]
	v_add_f64 v[227:228], v[100:101], v[128:129]
	v_mul_f64 v[152:153], v[203:204], s[24:25]
	v_fma_f64 v[160:161], v[229:230], s[20:21], -v[162:163]
	v_add_f64 v[156:157], v[164:165], v[156:157]
	v_mov_b32_e32 v47, v17
	v_add_f64 v[28:29], v[108:109], -v[120:121]
	v_mov_b32_e32 v46, v16
	v_add_f64 v[16:17], v[110:111], -v[122:123]
	v_fma_f64 v[144:145], v[189:190], s[20:21], -v[144:145]
	v_add_f64 v[2:3], v[140:141], v[2:3]
	v_fma_f64 v[140:141], v[215:216], s[8:9], v[158:159]
	v_add_f64 v[4:5], v[4:5], v[150:151]
	v_add_f64 v[225:226], v[104:105], v[124:125]
	v_mul_f64 v[150:151], v[213:214], s[42:43]
	v_fma_f64 v[158:159], v[227:228], s[10:11], -v[152:153]
	v_add_f64 v[156:157], v[160:161], v[156:157]
	s_mov_b32 s26, 0x923c349f
	s_mov_b32 s27, 0xbfeec746
	v_mul_f64 v[148:149], v[28:29], s[26:27]
	v_add_f64 v[183:184], v[110:111], v[122:123]
	v_add_f64 v[38:39], v[114:115], -v[118:119]
	v_fma_f64 v[142:143], v[187:188], s[10:11], -v[142:143]
	v_add_f64 v[2:3], v[144:145], v[2:3]
	v_fma_f64 v[144:145], v[229:230], s[20:21], v[162:163]
	v_add_f64 v[4:5], v[140:141], v[4:5]
	v_add_f64 v[223:224], v[108:109], v[120:121]
	v_mul_f64 v[140:141], v[16:17], s[26:27]
	v_fma_f64 v[160:161], v[225:226], s[34:35], -v[150:151]
	v_add_f64 v[156:157], v[158:159], v[156:157]
	s_mov_b32 s28, 0xc61f0d01
	s_mov_b32 s29, 0xbfd183b1
	v_add_f64 v[177:178], v[114:115], v[118:119]
	v_fma_f64 v[154:155], v[183:184], s[28:29], v[148:149]
	v_fma_f64 v[146:147], v[185:186], s[34:35], -v[146:147]
	v_add_f64 v[2:3], v[142:143], v[2:3]
	v_fma_f64 v[142:143], v[227:228], s[10:11], v[152:153]
	v_add_f64 v[4:5], v[144:145], v[4:5]
	v_add_f64 v[221:222], v[112:113], v[116:117]
	v_mul_f64 v[144:145], v[38:39], s[50:51]
	v_fma_f64 v[152:153], v[223:224], s[28:29], -v[140:141]
	v_add_f64 v[156:157], v[160:161], v[156:157]
	s_mov_b32 s30, 0x3259b75e
	s_mov_b32 s31, 0x3fb79ee6
	v_add_f64 v[2:3], v[146:147], v[2:3]
	v_fma_f64 v[146:147], v[225:226], s[34:35], v[150:151]
	v_add_f64 v[4:5], v[142:143], v[4:5]
	v_fma_f64 v[142:143], v[177:178], s[30:31], v[0:1]
	v_add_f64 v[6:7], v[154:155], v[6:7]
	v_fma_f64 v[150:151], v[221:222], s[30:31], -v[144:145]
	v_add_f64 v[152:153], v[152:153], v[156:157]
	v_fma_f64 v[148:149], v[183:184], s[28:29], -v[148:149]
	v_mov_b32_e32 v210, v37
	v_mov_b32_e32 v218, v39
	;; [unrolled: 1-line block ×4, first 2 shown]
	v_add_f64 v[38:39], v[142:143], v[6:7]
	v_fma_f64 v[0:1], v[177:178], s[30:31], -v[0:1]
	v_add_f64 v[36:37], v[150:151], v[152:153]
	v_add_f64 v[2:3], v[148:149], v[2:3]
	buffer_store_dword v36, off, s[60:63], 0 offset:140 ; 4-byte Folded Spill
	s_nop 0
	buffer_store_dword v37, off, s[60:63], 0 offset:144 ; 4-byte Folded Spill
	buffer_store_dword v38, off, s[60:63], 0 offset:148 ; 4-byte Folded Spill
	;; [unrolled: 1-line block ×3, first 2 shown]
	v_add_f64 v[38:39], v[0:1], v[2:3]
	v_fma_f64 v[0:1], v[221:222], s[30:31], v[144:145]
	v_mul_f64 v[144:145], v[18:19], s[22:23]
	v_mul_f64 v[158:159], v[181:182], s[42:43]
	;; [unrolled: 1-line block ×3, first 2 shown]
	s_mov_b32 s41, 0xbfefdd0d
	s_mov_b32 s40, s50
	buffer_store_dword v169, off, s[60:63], 0 offset:88 ; 4-byte Folded Spill
	buffer_store_dword v170, off, s[60:63], 0 offset:96 ; 4-byte Folded Spill
	s_nop 0
	buffer_store_dword v171, off, s[60:63], 0 offset:100 ; 4-byte Folded Spill
	buffer_store_dword v172, off, s[60:63], 0 offset:104 ; 4-byte Folded Spill
	;; [unrolled: 1-line block ×3, first 2 shown]
	v_mul_f64 v[166:167], v[42:43], s[40:41]
	v_fma_f64 v[160:161], v[195:196], s[8:9], v[144:145]
	v_fma_f64 v[168:169], v[191:192], s[34:35], v[158:159]
	v_mul_f64 v[172:173], v[46:47], s[42:43]
	v_fma_f64 v[174:175], v[207:208], s[8:9], -v[164:165]
	s_mov_b32 s55, 0x3fe9895b
	s_mov_b32 s54, s24
	buffer_store_dword v238, off, s[60:63], 0 ; 4-byte Folded Spill
	s_nop 0
	buffer_store_dword v239, off, s[60:63], 0 offset:4 ; 4-byte Folded Spill
	buffer_store_dword v240, off, s[60:63], 0 offset:8 ; 4-byte Folded Spill
	;; [unrolled: 1-line block ×4, first 2 shown]
	s_nop 0
	buffer_store_dword v250, off, s[60:63], 0 offset:176 ; 4-byte Folded Spill
	buffer_store_dword v251, off, s[60:63], 0 offset:180 ; 4-byte Folded Spill
	;; [unrolled: 1-line block ×3, first 2 shown]
	v_add_f64 v[160:161], v[82:83], v[160:161]
	v_mul_f64 v[162:163], v[40:41], s[54:55]
	v_fma_f64 v[144:145], v[195:196], s[8:9], -v[144:145]
	v_fma_f64 v[243:244], v[193:194], s[30:31], v[166:167]
	v_fma_f64 v[164:165], v[207:208], s[8:9], v[164:165]
	v_fma_f64 v[251:252], v[205:206], s[34:35], -v[172:173]
	v_add_f64 v[174:175], v[80:81], v[174:175]
	s_mov_b32 s37, 0xbfd71e95
	v_add_f64 v[160:161], v[168:169], v[160:161]
	v_mul_f64 v[168:169], v[209:210], s[40:41]
	s_mov_b32 s36, s38
	v_mul_f64 v[152:153], v[34:35], s[36:37]
	v_fma_f64 v[241:242], v[189:190], s[10:11], v[162:163]
	v_fma_f64 v[158:159], v[191:192], s[34:35], -v[158:159]
	v_add_f64 v[144:145], v[82:83], v[144:145]
	v_fma_f64 v[172:173], v[205:206], s[34:35], v[172:173]
	v_add_f64 v[164:165], v[80:81], v[164:165]
	v_add_f64 v[160:161], v[243:244], v[160:161]
	v_mul_f64 v[243:244], v[219:220], s[54:55]
	v_fma_f64 v[253:254], v[215:216], s[30:31], -v[168:169]
	v_add_f64 v[174:175], v[251:252], v[174:175]
	v_mul_f64 v[156:157], v[30:31], s[16:17]
	v_fma_f64 v[170:171], v[187:188], s[18:19], v[152:153]
	v_fma_f64 v[166:167], v[193:194], s[30:31], -v[166:167]
	v_add_f64 v[144:145], v[158:159], v[144:145]
	v_fma_f64 v[158:159], v[215:216], s[30:31], v[168:169]
	v_add_f64 v[164:165], v[172:173], v[164:165]
	v_add_f64 v[160:161], v[241:242], v[160:161]
	v_mul_f64 v[168:169], v[203:204], s[36:37]
	v_fma_f64 v[172:173], v[229:230], s[10:11], -v[243:244]
	v_add_f64 v[174:175], v[253:254], v[174:175]
	v_fma_f64 v[150:151], v[185:186], s[2:3], v[156:157]
	v_fma_f64 v[162:163], v[189:190], s[10:11], -v[162:163]
	v_add_f64 v[144:145], v[166:167], v[144:145]
	v_fma_f64 v[166:167], v[229:230], s[10:11], v[243:244]
	v_add_f64 v[158:159], v[158:159], v[164:165]
	v_add_f64 v[160:161], v[170:171], v[160:161]
	v_mul_f64 v[164:165], v[213:214], s[16:17]
	v_fma_f64 v[170:171], v[227:228], s[18:19], -v[168:169]
	v_add_f64 v[172:173], v[172:173], v[174:175]
	v_mov_b32_e32 v212, v17
	v_mov_b32_e32 v211, v16
	v_fma_f64 v[148:149], v[223:224], s[28:29], v[140:141]
	v_add_f64 v[4:5], v[146:147], v[4:5]
	v_fma_f64 v[152:153], v[187:188], s[18:19], -v[152:153]
	v_add_f64 v[144:145], v[162:163], v[144:145]
	v_fma_f64 v[162:163], v[227:228], s[18:19], v[168:169]
	v_add_f64 v[158:159], v[166:167], v[158:159]
	v_add_f64 v[150:151], v[150:151], v[160:161]
	v_mul_f64 v[160:161], v[211:212], s[46:47]
	v_fma_f64 v[166:167], v[225:226], s[2:3], -v[164:165]
	v_add_f64 v[168:169], v[170:171], v[172:173]
	v_add_f64 v[2:3], v[148:149], v[4:5]
	;; [unrolled: 1-line block ×3, first 2 shown]
	v_fma_f64 v[152:153], v[225:226], s[2:3], v[164:165]
	v_add_f64 v[158:159], v[162:163], v[158:159]
	s_mov_b32 s53, 0x3feec746
	v_fma_f64 v[164:165], v[223:224], s[20:21], -v[160:161]
	s_mov_b32 s52, s26
	v_add_f64 v[166:167], v[166:167], v[168:169]
	v_add_f64 v[36:37], v[0:1], v[2:3]
	v_mul_f64 v[6:7], v[28:29], s[46:47]
	v_mul_f64 v[243:244], v[46:47], s[52:53]
	v_add_f64 v[152:153], v[152:153], v[158:159]
	v_mul_f64 v[158:159], v[18:19], s[24:25]
	v_mul_f64 v[154:155], v[32:33], s[26:27]
	;; [unrolled: 1-line block ×3, first 2 shown]
	v_add_f64 v[2:3], v[164:165], v[166:167]
	v_mul_f64 v[164:165], v[44:45], s[24:25]
	v_mul_f64 v[166:167], v[181:182], s[52:53]
	v_fma_f64 v[148:149], v[183:184], s[20:21], v[6:7]
	v_mul_f64 v[179:180], v[209:210], s[36:37]
	v_fma_f64 v[170:171], v[195:196], s[10:11], v[158:159]
	v_fma_f64 v[158:159], v[195:196], s[10:11], -v[158:159]
	v_fma_f64 v[197:198], v[205:206], s[28:29], -v[243:244]
	v_fma_f64 v[4:5], v[177:178], s[28:29], v[154:155]
	v_fma_f64 v[251:252], v[207:208], s[10:11], -v[164:165]
	v_fma_f64 v[253:254], v[191:192], s[28:29], v[166:167]
	v_add_f64 v[148:149], v[148:149], v[150:151]
	v_mul_f64 v[162:163], v[217:218], s[26:27]
	v_add_f64 v[170:171], v[82:83], v[170:171]
	v_mul_f64 v[249:250], v[40:41], s[22:23]
	v_fma_f64 v[16:17], v[193:194], s[18:19], v[174:175]
	v_fma_f64 v[166:167], v[191:192], s[28:29], -v[166:167]
	v_add_f64 v[251:252], v[80:81], v[251:252]
	v_add_f64 v[158:159], v[82:83], v[158:159]
	v_mul_f64 v[199:200], v[219:220], s[22:23]
	v_fma_f64 v[164:165], v[207:208], s[10:11], v[164:165]
	v_add_f64 v[170:171], v[253:254], v[170:171]
	v_fma_f64 v[201:202], v[215:216], s[18:19], -v[179:180]
	buffer_store_dword v36, off, s[60:63], 0 offset:156 ; 4-byte Folded Spill
	s_nop 0
	buffer_store_dword v37, off, s[60:63], 0 offset:160 ; 4-byte Folded Spill
	buffer_store_dword v38, off, s[60:63], 0 offset:164 ; 4-byte Folded Spill
	;; [unrolled: 1-line block ×3, first 2 shown]
	v_fma_f64 v[156:157], v[185:186], s[2:3], -v[156:157]
	v_add_f64 v[197:198], v[197:198], v[251:252]
	v_fma_f64 v[160:161], v[223:224], s[20:21], v[160:161]
	v_add_f64 v[38:39], v[4:5], v[148:149]
	v_fma_f64 v[0:1], v[221:222], s[28:29], -v[162:163]
	v_fma_f64 v[4:5], v[177:178], s[28:29], -v[154:155]
	v_fma_f64 v[154:155], v[221:222], s[28:29], v[162:163]
	v_mul_f64 v[162:163], v[34:35], s[50:51]
	v_fma_f64 v[253:254], v[189:190], s[8:9], v[249:250]
	v_fma_f64 v[174:175], v[193:194], s[18:19], -v[174:175]
	v_add_f64 v[158:159], v[166:167], v[158:159]
	v_add_f64 v[16:17], v[16:17], v[170:171]
	v_mul_f64 v[166:167], v[203:204], s[50:51]
	v_fma_f64 v[170:171], v[205:206], s[28:29], v[243:244]
	v_add_f64 v[164:165], v[80:81], v[164:165]
	v_fma_f64 v[243:244], v[229:230], s[8:9], -v[199:200]
	v_add_f64 v[197:198], v[201:202], v[197:198]
	s_mov_b32 s45, 0xbfe58eea
	s_mov_b32 s44, s46
	v_fma_f64 v[6:7], v[183:184], s[20:21], -v[6:7]
	v_add_f64 v[156:157], v[156:157], v[144:145]
	v_add_f64 v[152:153], v[160:161], v[152:153]
	v_mul_f64 v[160:161], v[30:31], s[44:45]
	v_fma_f64 v[241:242], v[187:188], s[30:31], v[162:163]
	v_fma_f64 v[201:202], v[189:190], s[8:9], -v[249:250]
	v_add_f64 v[158:159], v[174:175], v[158:159]
	v_add_f64 v[16:17], v[253:254], v[16:17]
	v_mul_f64 v[174:175], v[213:214], s[44:45]
	v_fma_f64 v[179:180], v[215:216], s[18:19], v[179:180]
	v_add_f64 v[164:165], v[170:171], v[164:165]
	v_fma_f64 v[170:171], v[227:228], s[30:31], -v[166:167]
	v_add_f64 v[197:198], v[243:244], v[197:198]
	v_add_f64 v[6:7], v[6:7], v[156:157]
	v_mul_f64 v[156:157], v[28:29], s[16:17]
	v_fma_f64 v[172:173], v[185:186], s[20:21], v[160:161]
	v_fma_f64 v[162:163], v[187:188], s[30:31], -v[162:163]
	v_add_f64 v[158:159], v[201:202], v[158:159]
	v_add_f64 v[16:17], v[241:242], v[16:17]
	v_mul_f64 v[201:202], v[211:212], s[16:17]
	v_fma_f64 v[199:200], v[229:230], s[8:9], v[199:200]
	v_add_f64 v[164:165], v[179:180], v[164:165]
	v_fma_f64 v[179:180], v[225:226], s[20:21], -v[174:175]
	v_add_f64 v[170:171], v[170:171], v[197:198]
	v_mul_f64 v[148:149], v[32:33], s[42:43]
	v_fma_f64 v[168:169], v[183:184], s[2:3], v[156:157]
	v_fma_f64 v[160:161], v[185:186], s[20:21], -v[160:161]
	v_add_f64 v[158:159], v[162:163], v[158:159]
	v_add_f64 v[16:17], v[172:173], v[16:17]
	v_mul_f64 v[172:173], v[217:218], s[42:43]
	v_fma_f64 v[162:163], v[227:228], s[30:31], v[166:167]
	v_add_f64 v[164:165], v[199:200], v[164:165]
	v_fma_f64 v[166:167], v[223:224], s[2:3], -v[201:202]
	v_add_f64 v[170:171], v[179:180], v[170:171]
	v_add_f64 v[36:37], v[0:1], v[2:3]
	;; [unrolled: 1-line block ×5, first 2 shown]
	v_fma_f64 v[160:161], v[177:178], s[34:35], v[148:149]
	v_add_f64 v[16:17], v[168:169], v[16:17]
	v_add_f64 v[162:163], v[162:163], v[164:165]
	v_fma_f64 v[164:165], v[221:222], s[34:35], -v[172:173]
	v_add_f64 v[166:167], v[166:167], v[170:171]
	v_fma_f64 v[156:157], v[183:184], s[2:3], -v[156:157]
	buffer_store_dword v36, off, s[60:63], 0 offset:188 ; 4-byte Folded Spill
	s_nop 0
	buffer_store_dword v37, off, s[60:63], 0 offset:192 ; 4-byte Folded Spill
	buffer_store_dword v38, off, s[60:63], 0 offset:196 ; 4-byte Folded Spill
	;; [unrolled: 1-line block ×4, first 2 shown]
	s_nop 0
	buffer_store_dword v5, off, s[60:63], 0 offset:224 ; 4-byte Folded Spill
	buffer_store_dword v6, off, s[60:63], 0 offset:228 ; 4-byte Folded Spill
	;; [unrolled: 1-line block ×3, first 2 shown]
	v_fma_f64 v[168:169], v[225:226], s[20:21], v[174:175]
	v_add_f64 v[6:7], v[160:161], v[16:17]
	v_fma_f64 v[170:171], v[177:178], s[34:35], -v[148:149]
	v_mul_f64 v[16:17], v[18:19], s[26:27]
	v_add_f64 v[4:5], v[164:165], v[166:167]
	v_add_f64 v[174:175], v[156:157], v[158:159]
	v_mul_f64 v[160:161], v[44:45], s[26:27]
	v_mov_b32_e32 v157, v47
	buffer_store_dword v4, off, s[60:63], 0 offset:204 ; 4-byte Folded Spill
	s_nop 0
	buffer_store_dword v5, off, s[60:63], 0 offset:208 ; 4-byte Folded Spill
	buffer_store_dword v6, off, s[60:63], 0 offset:212 ; 4-byte Folded Spill
	;; [unrolled: 1-line block ×3, first 2 shown]
	s_mov_b32 s57, 0x3fe0d888
	s_mov_b32 s56, s22
	v_mov_b32_e32 v156, v46
	v_add_f64 v[2:3], v[168:169], v[162:163]
	v_add_f64 v[142:143], v[170:171], v[174:175]
	v_fma_f64 v[4:5], v[221:222], s[34:35], v[172:173]
	v_mul_f64 v[164:165], v[181:182], s[56:57]
	v_fma_f64 v[168:169], v[195:196], s[28:29], v[16:17]
	v_mul_f64 v[170:171], v[156:157], s[56:57]
	v_fma_f64 v[172:173], v[207:208], s[28:29], -v[160:161]
	v_fma_f64 v[16:17], v[195:196], s[28:29], -v[16:17]
	v_mov_b32_e32 v155, v43
	v_mov_b32_e32 v154, v42
	v_mul_f64 v[174:175], v[154:155], s[46:47]
	v_fma_f64 v[179:180], v[191:192], s[8:9], v[164:165]
	v_add_f64 v[168:169], v[82:83], v[168:169]
	v_mul_f64 v[197:198], v[209:210], s[46:47]
	v_fma_f64 v[199:200], v[205:206], s[8:9], -v[170:171]
	v_add_f64 v[172:173], v[80:81], v[172:173]
	v_fma_f64 v[164:165], v[191:192], s[8:9], -v[164:165]
	v_add_f64 v[16:17], v[82:83], v[16:17]
	s_mov_b32 s49, 0xbfeca52d
	s_mov_b32 s48, s42
	v_fma_f64 v[0:1], v[223:224], s[2:3], v[201:202]
	v_mul_f64 v[201:202], v[40:41], s[48:49]
	v_fma_f64 v[241:242], v[193:194], s[20:21], v[174:175]
	v_add_f64 v[168:169], v[179:180], v[168:169]
	v_mul_f64 v[179:180], v[219:220], s[48:49]
	v_fma_f64 v[243:244], v[215:216], s[20:21], -v[197:198]
	v_add_f64 v[172:173], v[199:200], v[172:173]
	v_fma_f64 v[174:175], v[193:194], s[20:21], -v[174:175]
	v_add_f64 v[16:17], v[164:165], v[16:17]
	v_mov_b32_e32 v149, v35
	v_mov_b32_e32 v148, v34
	v_mul_f64 v[199:200], v[148:149], s[16:17]
	v_fma_f64 v[249:250], v[189:190], s[34:35], v[201:202]
	v_add_f64 v[164:165], v[241:242], v[168:169]
	v_mul_f64 v[168:169], v[203:204], s[16:17]
	v_fma_f64 v[241:242], v[229:230], s[34:35], -v[179:180]
	v_add_f64 v[172:173], v[243:244], v[172:173]
	v_fma_f64 v[201:202], v[189:190], s[34:35], -v[201:202]
	v_add_f64 v[16:17], v[174:175], v[16:17]
	v_mul_f64 v[243:244], v[30:31], s[50:51]
	v_fma_f64 v[251:252], v[187:188], s[2:3], v[199:200]
	v_add_f64 v[164:165], v[249:250], v[164:165]
	v_mul_f64 v[174:175], v[213:214], s[50:51]
	v_fma_f64 v[249:250], v[227:228], s[2:3], -v[168:169]
	v_add_f64 v[172:173], v[241:242], v[172:173]
	v_fma_f64 v[199:200], v[187:188], s[2:3], -v[199:200]
	v_fma_f64 v[160:161], v[207:208], s[28:29], v[160:161]
	v_add_f64 v[16:17], v[201:202], v[16:17]
	v_mov_b32_e32 v152, v211
	v_mov_b32_e32 v153, v212
	v_mul_f64 v[6:7], v[28:29], s[36:37]
	v_fma_f64 v[241:242], v[185:186], s[30:31], v[243:244]
	v_add_f64 v[164:165], v[251:252], v[164:165]
	v_mul_f64 v[201:202], v[152:153], s[36:37]
	v_fma_f64 v[251:252], v[225:226], s[30:31], -v[174:175]
	v_add_f64 v[172:173], v[249:250], v[172:173]
	v_fma_f64 v[243:244], v[185:186], s[30:31], -v[243:244]
	v_fma_f64 v[170:171], v[205:206], s[8:9], v[170:171]
	v_add_f64 v[160:161], v[80:81], v[160:161]
	v_add_f64 v[16:17], v[199:200], v[16:17]
	v_mov_b32_e32 v36, v217
	v_mov_b32_e32 v37, v218
	v_add_f64 v[0:1], v[0:1], v[2:3]
	v_mul_f64 v[2:3], v[32:33], s[24:25]
	v_fma_f64 v[166:167], v[183:184], s[18:19], v[6:7]
	v_add_f64 v[164:165], v[241:242], v[164:165]
	v_mul_f64 v[199:200], v[36:37], s[24:25]
	v_fma_f64 v[241:242], v[223:224], s[18:19], -v[201:202]
	v_add_f64 v[172:173], v[251:252], v[172:173]
	v_fma_f64 v[6:7], v[183:184], s[18:19], -v[6:7]
	v_fma_f64 v[197:198], v[215:216], s[20:21], v[197:198]
	v_add_f64 v[160:161], v[170:171], v[160:161]
	v_add_f64 v[16:17], v[243:244], v[16:17]
	v_fma_f64 v[170:171], v[177:178], s[10:11], v[2:3]
	v_add_f64 v[164:165], v[166:167], v[164:165]
	v_fma_f64 v[243:244], v[221:222], s[10:11], -v[199:200]
	v_add_f64 v[172:173], v[241:242], v[172:173]
	v_fma_f64 v[2:3], v[177:178], s[10:11], -v[2:3]
	v_fma_f64 v[179:180], v[229:230], s[34:35], v[179:180]
	v_add_f64 v[197:198], v[197:198], v[160:161]
	v_add_f64 v[6:7], v[6:7], v[16:17]
	;; [unrolled: 1-line block ×3, first 2 shown]
	v_mul_f64 v[0:1], v[18:19], s[40:41]
	v_mul_f64 v[16:17], v[44:45], s[40:41]
	v_add_f64 v[166:167], v[170:171], v[164:165]
	v_add_f64 v[164:165], v[243:244], v[172:173]
	v_fma_f64 v[4:5], v[227:228], s[2:3], v[168:169]
	v_add_f64 v[168:169], v[179:180], v[197:198]
	v_add_f64 v[170:171], v[2:3], v[6:7]
	v_mul_f64 v[6:7], v[181:182], s[16:17]
	v_fma_f64 v[172:173], v[195:196], s[30:31], v[0:1]
	v_mul_f64 v[179:180], v[156:157], s[16:17]
	v_fma_f64 v[197:198], v[207:208], s[30:31], -v[16:17]
	v_fma_f64 v[2:3], v[221:222], s[10:11], v[199:200]
	v_fma_f64 v[174:175], v[225:226], s[30:31], v[174:175]
	v_add_f64 v[4:5], v[4:5], v[168:169]
	v_fma_f64 v[168:169], v[223:224], s[18:19], v[201:202]
	v_mul_f64 v[199:200], v[154:155], s[52:53]
	v_fma_f64 v[201:202], v[191:192], s[2:3], v[6:7]
	v_add_f64 v[172:173], v[82:83], v[172:173]
	v_mul_f64 v[241:242], v[209:210], s[52:53]
	v_fma_f64 v[243:244], v[205:206], s[2:3], -v[179:180]
	v_add_f64 v[197:198], v[80:81], v[197:198]
	v_fma_f64 v[0:1], v[195:196], s[30:31], -v[0:1]
	v_add_f64 v[4:5], v[174:175], v[4:5]
	v_mul_f64 v[174:175], v[40:41], s[38:39]
	v_fma_f64 v[249:250], v[193:194], s[28:29], v[199:200]
	v_add_f64 v[172:173], v[201:202], v[172:173]
	v_mul_f64 v[201:202], v[219:220], s[38:39]
	v_fma_f64 v[251:252], v[215:216], s[28:29], -v[241:242]
	v_add_f64 v[197:198], v[243:244], v[197:198]
	v_fma_f64 v[6:7], v[191:192], s[2:3], -v[6:7]
	v_add_f64 v[0:1], v[82:83], v[0:1]
	v_mov_b32_e32 v158, v209
	v_mov_b32_e32 v159, v210
	v_mul_f64 v[243:244], v[148:149], s[48:49]
	v_fma_f64 v[253:254], v[189:190], s[18:19], v[174:175]
	v_add_f64 v[172:173], v[249:250], v[172:173]
	v_mul_f64 v[249:250], v[203:204], s[48:49]
	v_fma_f64 v[209:210], v[229:230], s[18:19], -v[201:202]
	v_add_f64 v[197:198], v[251:252], v[197:198]
	v_fma_f64 v[199:200], v[193:194], s[28:29], -v[199:200]
	v_add_f64 v[0:1], v[6:7], v[0:1]
	buffer_store_dword v140, off, s[60:63], 0 offset:236 ; 4-byte Folded Spill
	s_nop 0
	buffer_store_dword v141, off, s[60:63], 0 offset:240 ; 4-byte Folded Spill
	buffer_store_dword v142, off, s[60:63], 0 offset:244 ; 4-byte Folded Spill
	;; [unrolled: 1-line block ×3, first 2 shown]
	v_mov_b32_e32 v143, v31
	v_mov_b32_e32 v142, v30
	v_mul_f64 v[6:7], v[142:143], s[22:23]
	v_fma_f64 v[251:252], v[187:188], s[34:35], v[243:244]
	v_add_f64 v[172:173], v[253:254], v[172:173]
	v_mul_f64 v[253:254], v[213:214], s[22:23]
	v_fma_f64 v[211:212], v[227:228], s[34:35], -v[249:250]
	v_add_f64 v[197:198], v[209:210], v[197:198]
	v_fma_f64 v[174:175], v[189:190], s[18:19], -v[174:175]
	v_add_f64 v[0:1], v[199:200], v[0:1]
	v_mul_f64 v[199:200], v[28:29], s[54:55]
	v_fma_f64 v[209:210], v[185:186], s[8:9], v[6:7]
	v_add_f64 v[172:173], v[251:252], v[172:173]
	v_mul_f64 v[251:252], v[152:153], s[54:55]
	v_fma_f64 v[217:218], v[225:226], s[8:9], -v[253:254]
	v_add_f64 v[197:198], v[211:212], v[197:198]
	v_fma_f64 v[211:212], v[187:188], s[34:35], -v[243:244]
	v_add_f64 v[0:1], v[174:175], v[0:1]
	;; [unrolled: 8-line block ×3, first 2 shown]
	v_add_f64 v[4:5], v[168:169], v[4:5]
	v_fma_f64 v[16:17], v[207:208], s[30:31], v[16:17]
	v_fma_f64 v[211:212], v[177:178], s[20:21], v[243:244]
	v_add_f64 v[172:173], v[174:175], v[172:173]
	v_fma_f64 v[217:218], v[221:222], s[20:21], -v[209:210]
	v_add_f64 v[197:198], v[231:232], v[197:198]
	v_fma_f64 v[199:200], v[183:184], s[10:11], -v[199:200]
	v_add_f64 v[0:1], v[6:7], v[0:1]
	v_add_f64 v[168:169], v[2:3], v[4:5]
	v_fma_f64 v[2:3], v[205:206], s[2:3], v[179:180]
	v_mul_f64 v[4:5], v[18:19], s[48:49]
	v_add_f64 v[6:7], v[80:81], v[16:17]
	v_mov_b32_e32 v161, v45
	v_mov_b32_e32 v160, v44
	v_add_f64 v[174:175], v[211:212], v[172:173]
	v_add_f64 v[172:173], v[217:218], v[197:198]
	;; [unrolled: 1-line block ×3, first 2 shown]
	v_fma_f64 v[179:180], v[215:216], s[28:29], v[241:242]
	v_mul_f64 v[197:198], v[181:182], s[24:25]
	v_fma_f64 v[199:200], v[195:196], s[34:35], v[4:5]
	v_add_f64 v[2:3], v[2:3], v[6:7]
	v_fma_f64 v[6:7], v[229:230], s[18:19], v[201:202]
	v_mul_f64 v[201:202], v[160:161], s[48:49]
	s_mov_b32 s51, 0x3fc7851a
	s_mov_b32 s50, s16
	v_mul_f64 v[211:212], v[154:155], s[50:51]
	v_fma_f64 v[217:218], v[191:192], s[10:11], v[197:198]
	v_add_f64 v[199:200], v[82:83], v[199:200]
	v_add_f64 v[2:3], v[179:180], v[2:3]
	v_mul_f64 v[231:232], v[156:157], s[24:25]
	v_fma_f64 v[241:242], v[207:208], s[34:35], -v[201:202]
	v_mov_b32_e32 v151, v41
	v_mov_b32_e32 v150, v40
	v_fma_f64 v[16:17], v[177:178], s[20:21], -v[243:244]
	v_fma_f64 v[179:180], v[221:222], s[20:21], v[209:210]
	v_fma_f64 v[209:210], v[227:228], s[34:35], v[249:250]
	v_mul_f64 v[243:244], v[150:151], s[52:53]
	v_fma_f64 v[249:250], v[193:194], s[2:3], v[211:212]
	v_add_f64 v[199:200], v[217:218], v[199:200]
	v_add_f64 v[2:3], v[6:7], v[2:3]
	v_fma_f64 v[6:7], v[225:226], s[8:9], v[253:254]
	v_mul_f64 v[217:218], v[158:159], s[50:51]
	v_fma_f64 v[253:254], v[205:206], s[10:11], -v[231:232]
	v_add_f64 v[241:242], v[80:81], v[241:242]
	v_mul_f64 v[233:234], v[148:149], s[46:47]
	v_fma_f64 v[235:236], v[189:190], s[28:29], v[243:244]
	v_add_f64 v[199:200], v[249:250], v[199:200]
	v_add_f64 v[2:3], v[209:210], v[2:3]
	v_fma_f64 v[209:210], v[223:224], s[10:11], v[251:252]
	v_mul_f64 v[249:250], v[219:220], s[52:53]
	v_fma_f64 v[251:252], v[215:216], s[2:3], -v[217:218]
	v_add_f64 v[241:242], v[253:254], v[241:242]
	v_mul_f64 v[237:238], v[142:143], s[36:37]
	v_fma_f64 v[239:240], v[187:188], s[20:21], v[233:234]
	v_add_f64 v[199:200], v[235:236], v[199:200]
	v_add_f64 v[2:3], v[6:7], v[2:3]
	v_mul_f64 v[6:7], v[203:204], s[46:47]
	v_fma_f64 v[4:5], v[195:196], s[34:35], -v[4:5]
	v_fma_f64 v[235:236], v[229:230], s[28:29], -v[249:250]
	v_add_f64 v[241:242], v[251:252], v[241:242]
	v_mov_b32_e32 v45, v29
	v_mov_b32_e32 v44, v28
	v_mul_f64 v[28:29], v[44:45], s[40:41]
	v_fma_f64 v[30:31], v[185:186], s[18:19], v[237:238]
	v_add_f64 v[199:200], v[239:240], v[199:200]
	v_mul_f64 v[239:240], v[213:214], s[36:37]
	v_fma_f64 v[197:198], v[191:192], s[10:11], -v[197:198]
	v_add_f64 v[4:5], v[82:83], v[4:5]
	v_fma_f64 v[251:252], v[227:228], s[20:21], -v[6:7]
	v_add_f64 v[235:236], v[235:236], v[241:242]
	v_mov_b32_e32 v47, v33
	v_mov_b32_e32 v46, v32
	v_mul_f64 v[241:242], v[46:47], s[22:23]
	v_fma_f64 v[253:254], v[183:184], s[30:31], v[28:29]
	v_add_f64 v[30:31], v[30:31], v[199:200]
	v_mul_f64 v[199:200], v[152:153], s[40:41]
	v_fma_f64 v[211:212], v[193:194], s[2:3], -v[211:212]
	v_add_f64 v[4:5], v[197:198], v[4:5]
	v_fma_f64 v[197:198], v[225:226], s[18:19], -v[239:240]
	v_add_f64 v[235:236], v[251:252], v[235:236]
	v_add_f64 v[2:3], v[209:210], v[2:3]
	v_fma_f64 v[209:210], v[177:178], s[8:9], v[241:242]
	v_add_f64 v[30:31], v[253:254], v[30:31]
	v_fma_f64 v[34:35], v[189:190], s[28:29], -v[243:244]
	v_add_f64 v[253:254], v[16:17], v[0:1]
	v_add_f64 v[4:5], v[211:212], v[4:5]
	v_fma_f64 v[211:212], v[223:224], s[30:31], -v[199:200]
	v_add_f64 v[197:198], v[197:198], v[235:236]
	v_mul_f64 v[16:17], v[18:19], s[44:45]
	v_fma_f64 v[0:1], v[187:188], s[20:21], -v[233:234]
	v_add_f64 v[146:147], v[209:210], v[30:31]
	v_mul_f64 v[209:210], v[181:182], s[40:41]
	v_mul_f64 v[233:234], v[154:155], s[24:25]
	v_add_f64 v[4:5], v[34:35], v[4:5]
	v_add_f64 v[251:252], v[179:180], v[2:3]
	;; [unrolled: 1-line block ×3, first 2 shown]
	v_fma_f64 v[197:198], v[207:208], s[34:35], v[201:202]
	v_fma_f64 v[211:212], v[195:196], s[20:21], v[16:17]
	v_fma_f64 v[201:202], v[185:186], s[18:19], -v[237:238]
	v_fma_f64 v[235:236], v[191:192], s[30:31], v[209:210]
	v_fma_f64 v[179:180], v[177:178], s[8:9], -v[241:242]
	v_add_f64 v[0:1], v[0:1], v[4:5]
	v_fma_f64 v[4:5], v[183:184], s[30:31], -v[28:29]
	v_fma_f64 v[28:29], v[205:206], s[10:11], v[231:232]
	v_mul_f64 v[231:232], v[160:161], s[44:45]
	v_add_f64 v[197:198], v[80:81], v[197:198]
	v_add_f64 v[211:212], v[82:83], v[211:212]
	v_fma_f64 v[241:242], v[193:194], s[10:11], v[233:234]
	v_mov_b32_e32 v163, v37
	v_add_f64 v[0:1], v[201:202], v[0:1]
	v_fma_f64 v[201:202], v[215:216], s[2:3], v[217:218]
	v_mul_f64 v[217:218], v[156:157], s[40:41]
	v_fma_f64 v[237:238], v[207:208], s[20:21], -v[231:232]
	v_add_f64 v[28:29], v[28:29], v[197:198]
	v_mul_f64 v[197:198], v[150:151], s[16:17]
	v_add_f64 v[211:212], v[235:236], v[211:212]
	v_mov_b32_e32 v162, v36
	v_fma_f64 v[235:236], v[229:230], s[28:29], v[249:250]
	v_mul_f64 v[249:250], v[158:159], s[24:25]
	v_fma_f64 v[243:244], v[205:206], s[30:31], -v[217:218]
	v_add_f64 v[237:238], v[80:81], v[237:238]
	v_add_f64 v[28:29], v[201:202], v[28:29]
	v_mul_f64 v[201:202], v[148:149], s[56:57]
	v_fma_f64 v[36:37], v[189:190], s[2:3], v[197:198]
	v_add_f64 v[38:39], v[241:242], v[211:212]
	v_fma_f64 v[6:7], v[227:228], s[20:21], v[6:7]
	v_mul_f64 v[211:212], v[219:220], s[16:17]
	v_fma_f64 v[241:242], v[215:216], s[10:11], -v[249:250]
	v_add_f64 v[237:238], v[243:244], v[237:238]
	v_add_f64 v[28:29], v[235:236], v[28:29]
	v_mul_f64 v[235:236], v[142:143], s[52:53]
	v_fma_f64 v[243:244], v[187:188], s[8:9], v[201:202]
	v_add_f64 v[36:37], v[36:37], v[38:39]
	;; [unrolled: 8-line block ×3, first 2 shown]
	v_mul_f64 v[32:33], v[162:163], s[22:23]
	v_mul_f64 v[241:242], v[213:214], s[52:53]
	v_fma_f64 v[243:244], v[227:228], s[8:9], -v[239:240]
	v_add_f64 v[40:41], v[40:41], v[42:43]
	v_add_f64 v[6:7], v[38:39], v[6:7]
	v_mul_f64 v[38:39], v[46:47], s[38:39]
	v_fma_f64 v[42:43], v[183:184], s[34:35], v[28:29]
	v_add_f64 v[36:37], v[237:238], v[36:37]
	v_fma_f64 v[30:31], v[221:222], s[8:9], -v[32:33]
	v_add_f64 v[4:5], v[4:5], v[0:1]
	v_mul_f64 v[237:238], v[152:153], s[42:43]
	v_fma_f64 v[0:1], v[225:226], s[28:29], -v[241:242]
	v_add_f64 v[40:41], v[243:244], v[40:41]
	v_fma_f64 v[243:244], v[177:178], s[18:19], v[38:39]
	v_fma_f64 v[16:17], v[195:196], s[20:21], -v[16:17]
	v_add_f64 v[36:37], v[42:43], v[36:37]
	v_mov_b32_e32 v2, v44
	v_mov_b32_e32 v3, v45
	v_fma_f64 v[44:45], v[223:224], s[34:35], -v[237:238]
	v_add_f64 v[144:145], v[30:31], v[34:35]
	v_add_f64 v[40:41], v[0:1], v[40:41]
	v_fma_f64 v[30:31], v[191:192], s[30:31], -v[209:210]
	v_add_f64 v[16:17], v[82:83], v[16:17]
	v_add_f64 v[243:244], v[243:244], v[36:37]
	v_fma_f64 v[36:37], v[177:178], s[18:19], -v[38:39]
	v_fma_f64 v[38:39], v[207:208], s[20:21], v[231:232]
	v_mov_b32_e32 v141, v47
	v_fma_f64 v[199:200], v[223:224], s[30:31], v[199:200]
	v_mov_b32_e32 v140, v46
	v_add_f64 v[34:35], v[44:45], v[40:41]
	v_fma_f64 v[40:41], v[193:194], s[10:11], -v[233:234]
	v_mul_f64 v[18:19], v[18:19], s[36:37]
	v_add_f64 v[16:17], v[30:31], v[16:17]
	v_fma_f64 v[46:47], v[205:206], s[30:31], v[217:218]
	v_add_f64 v[38:39], v[80:81], v[38:39]
	v_fma_f64 v[32:33], v[221:222], s[8:9], v[32:33]
	v_add_f64 v[199:200], v[199:200], v[6:7]
	v_add_f64 v[6:7], v[179:180], v[4:5]
	v_fma_f64 v[179:180], v[189:190], s[2:3], -v[197:198]
	v_mul_f64 v[181:182], v[181:182], s[44:45]
	v_fma_f64 v[197:198], v[195:196], s[18:19], v[18:19]
	v_add_f64 v[16:17], v[40:41], v[16:17]
	v_fma_f64 v[40:41], v[215:216], s[10:11], v[249:250]
	v_add_f64 v[86:87], v[82:83], v[86:87]
	v_add_f64 v[84:85], v[80:81], v[84:85]
	;; [unrolled: 1-line block ×4, first 2 shown]
	v_fma_f64 v[44:45], v[187:188], s[8:9], -v[201:202]
	v_mul_f64 v[46:47], v[154:155], s[48:49]
	v_fma_f64 v[199:200], v[191:192], s[20:21], v[181:182]
	v_add_f64 v[197:198], v[82:83], v[197:198]
	v_add_f64 v[16:17], v[179:180], v[16:17]
	v_fma_f64 v[179:180], v[229:230], s[2:3], v[211:212]
	v_add_f64 v[86:87], v[86:87], v[90:91]
	v_add_f64 v[84:85], v[84:85], v[88:89]
	;; [unrolled: 1-line block ×3, first 2 shown]
	v_fma_f64 v[30:31], v[185:186], s[28:29], -v[235:236]
	v_mul_f64 v[40:41], v[150:151], s[40:41]
	v_fma_f64 v[88:89], v[193:194], s[34:35], v[46:47]
	v_add_f64 v[90:91], v[199:200], v[197:198]
	v_add_f64 v[16:17], v[44:45], v[16:17]
	v_fma_f64 v[44:45], v[227:228], s[8:9], v[239:240]
	v_add_f64 v[86:87], v[86:87], v[94:95]
	v_add_f64 v[84:85], v[84:85], v[92:93]
	;; [unrolled: 1-line block ×3, first 2 shown]
	v_fma_f64 v[28:29], v[183:184], s[34:35], -v[28:29]
	v_fma_f64 v[94:95], v[189:190], s[30:31], v[40:41]
	v_add_f64 v[88:89], v[88:89], v[90:91]
	v_add_f64 v[16:17], v[30:31], v[16:17]
	v_fma_f64 v[30:31], v[225:226], s[28:29], v[241:242]
	v_add_f64 v[86:87], v[86:87], v[98:99]
	v_add_f64 v[84:85], v[84:85], v[96:97]
	;; [unrolled: 1-line block ×3, first 2 shown]
	v_mul_f64 v[42:43], v[162:163], s[38:39]
	v_mul_f64 v[92:93], v[148:149], s[26:27]
	v_add_f64 v[88:89], v[94:95], v[88:89]
	v_add_f64 v[16:17], v[28:29], v[16:17]
	v_mul_f64 v[44:45], v[142:143], s[24:25]
	v_add_f64 v[86:87], v[86:87], v[102:103]
	v_add_f64 v[94:95], v[84:85], v[100:101]
	;; [unrolled: 1-line block ×3, first 2 shown]
	v_mul_f64 v[38:39], v[2:3], s[22:23]
	buffer_load_dword v0, off, s[60:63], 0  ; 4-byte Folded Reload
	buffer_load_dword v1, off, s[60:63], 0 offset:4 ; 4-byte Folded Reload
	buffer_load_dword v2, off, s[60:63], 0 offset:8 ; 4-byte Folded Reload
	;; [unrolled: 1-line block ×3, first 2 shown]
	v_fma_f64 v[32:33], v[221:222], s[18:19], -v[42:43]
	v_fma_f64 v[90:91], v[187:188], s[28:29], v[92:93]
	v_add_f64 v[84:85], v[36:37], v[16:17]
	v_fma_f64 v[16:17], v[221:222], s[18:19], v[42:43]
	v_add_f64 v[36:37], v[86:87], v[106:107]
	v_add_f64 v[42:43], v[94:95], v[104:105]
	v_fma_f64 v[96:97], v[185:186], s[10:11], v[44:45]
	v_fma_f64 v[18:19], v[195:196], s[18:19], -v[18:19]
	v_mul_f64 v[104:105], v[156:157], s[44:45]
	v_add_f64 v[88:89], v[90:91], v[88:89]
	v_mul_f64 v[102:103], v[219:220], s[40:41]
	v_fma_f64 v[46:47], v[193:194], s[34:35], -v[46:47]
	v_add_f64 v[36:37], v[36:37], v[110:111]
	v_add_f64 v[42:43], v[42:43], v[108:109]
	v_mul_f64 v[108:109], v[158:159], s[48:49]
	v_fma_f64 v[110:111], v[191:192], s[20:21], -v[181:182]
	v_add_f64 v[18:19], v[82:83], v[18:19]
	v_add_f64 v[88:89], v[96:97], v[88:89]
	v_mul_f64 v[96:97], v[160:161], s[36:37]
	v_fma_f64 v[82:83], v[205:206], s[20:21], v[104:105]
	v_add_f64 v[36:37], v[36:37], v[114:115]
	v_add_f64 v[42:43], v[42:43], v[112:113]
	v_fma_f64 v[104:105], v[205:206], s[20:21], -v[104:105]
	v_mul_f64 v[100:101], v[203:204], s[26:27]
	v_add_f64 v[18:19], v[110:111], v[18:19]
	v_fma_f64 v[40:41], v[189:190], s[30:31], -v[40:41]
	v_fma_f64 v[106:107], v[207:208], s[18:19], v[96:97]
	v_fma_f64 v[96:97], v[207:208], s[18:19], -v[96:97]
	v_add_f64 v[36:37], v[36:37], v[118:119]
	v_add_f64 v[42:43], v[42:43], v[116:117]
	v_fma_f64 v[28:29], v[223:224], s[34:35], v[237:238]
	v_mul_f64 v[98:99], v[213:214], s[24:25]
	v_add_f64 v[18:19], v[46:47], v[18:19]
	v_fma_f64 v[46:47], v[229:230], s[30:31], v[102:103]
	v_add_f64 v[106:107], v[80:81], v[106:107]
	v_add_f64 v[80:81], v[80:81], v[96:97]
	;; [unrolled: 1-line block ×4, first 2 shown]
	v_fma_f64 v[96:97], v[215:216], s[34:35], v[108:109]
	v_add_f64 v[28:29], v[28:29], v[30:31]
	v_add_f64 v[18:19], v[40:41], v[18:19]
	v_fma_f64 v[40:41], v[227:228], s[28:29], v[100:101]
	v_add_f64 v[82:83], v[82:83], v[106:107]
	v_fma_f64 v[106:107], v[215:216], s[34:35], -v[108:109]
	v_add_f64 v[80:81], v[104:105], v[80:81]
	v_add_f64 v[36:37], v[36:37], v[126:127]
	;; [unrolled: 1-line block ×3, first 2 shown]
	v_mul_f64 v[30:31], v[140:141], s[16:17]
	v_fma_f64 v[92:93], v[187:188], s[28:29], -v[92:93]
	v_mul_f64 v[94:95], v[152:153], s[22:23]
	v_add_f64 v[82:83], v[96:97], v[82:83]
	v_fma_f64 v[96:97], v[229:230], s[30:31], -v[102:103]
	v_add_f64 v[80:81], v[106:107], v[80:81]
	v_add_f64 v[36:37], v[36:37], v[130:131]
	;; [unrolled: 1-line block ×3, first 2 shown]
	v_fma_f64 v[44:45], v[185:186], s[10:11], -v[44:45]
	v_add_f64 v[18:19], v[92:93], v[18:19]
	v_fma_f64 v[92:93], v[225:226], s[10:11], v[98:99]
	v_add_f64 v[46:47], v[46:47], v[82:83]
	v_fma_f64 v[82:83], v[227:228], s[28:29], -v[100:101]
	v_add_f64 v[80:81], v[96:97], v[80:81]
	v_add_f64 v[36:37], v[36:37], v[134:135]
	;; [unrolled: 1-line block ×3, first 2 shown]
	v_fma_f64 v[86:87], v[183:184], s[8:9], v[38:39]
	v_mul_f64 v[90:91], v[162:163], s[16:17]
	v_fma_f64 v[38:39], v[183:184], s[8:9], -v[38:39]
	v_add_f64 v[40:41], v[40:41], v[46:47]
	v_fma_f64 v[46:47], v[225:226], s[10:11], -v[98:99]
	v_add_f64 v[80:81], v[82:83], v[80:81]
	v_add_f64 v[36:37], v[36:37], v[138:139]
	;; [unrolled: 1-line block ×4, first 2 shown]
	v_fma_f64 v[44:45], v[223:224], s[8:9], v[94:95]
	v_fma_f64 v[82:83], v[223:224], s[8:9], -v[94:95]
	v_add_f64 v[40:41], v[92:93], v[40:41]
	v_fma_f64 v[94:95], v[221:222], s[2:3], -v[90:91]
	v_add_f64 v[46:47], v[46:47], v[80:81]
	v_fma_f64 v[80:81], v[177:178], s[2:3], -v[30:31]
	v_fma_f64 v[30:31], v[177:178], s[2:3], v[30:31]
	s_waitcnt vmcnt(0)
	v_add_f64 v[36:37], v[36:37], v[2:3]
	v_add_f64 v[42:43], v[42:43], v[0:1]
	buffer_load_dword v177, off, s[60:63], 0 offset:112 ; 4-byte Folded Reload
	buffer_load_dword v178, off, s[60:63], 0 offset:116 ; 4-byte Folded Reload
	;; [unrolled: 1-line block ×8, first 2 shown]
	v_add_f64 v[18:19], v[38:39], v[18:19]
	v_fma_f64 v[38:39], v[221:222], s[2:3], v[90:91]
	v_add_f64 v[40:41], v[44:45], v[40:41]
	v_add_f64 v[44:45], v[86:87], v[88:89]
	;; [unrolled: 1-line block ×4, first 2 shown]
	v_mul_lo_u16_e32 v16, 17, v246
	v_lshl_add_u32 v16, v16, 4, v255
	v_add_f64 v[88:89], v[80:81], v[18:19]
	buffer_load_dword v142, off, s[60:63], 0 offset:136 ; 4-byte Folded Reload
	v_add_f64 v[86:87], v[38:39], v[40:41]
	buffer_load_dword v141, off, s[60:63], 0 offset:132 ; 4-byte Folded Reload
	buffer_load_dword v140, off, s[60:63], 0 offset:128 ; 4-byte Folded Reload
	v_add_f64 v[241:242], v[32:33], v[34:35]
	v_add_f64 v[96:97], v[30:31], v[44:45]
	;; [unrolled: 1-line block ×3, first 2 shown]
	s_waitcnt vmcnt(3)
	v_add_f64 v[92:93], v[36:37], v[2:3]
	v_add_f64 v[90:91], v[42:43], v[0:1]
	ds_write_b128 v16, v[90:93]
	ds_write_b128 v16, v[86:89] offset:16
	ds_write_b128 v16, v[82:85] offset:32
	;; [unrolled: 1-line block ×5, first 2 shown]
	buffer_load_dword v169, off, s[60:63], 0 offset:88 ; 4-byte Folded Reload
	buffer_load_dword v0, off, s[60:63], 0 offset:236 ; 4-byte Folded Reload
	;; [unrolled: 1-line block ×5, first 2 shown]
	s_waitcnt vmcnt(0)
	ds_write_b128 v16, v[0:3] offset:96
	buffer_load_dword v0, off, s[60:63], 0 offset:220 ; 4-byte Folded Reload
	buffer_load_dword v1, off, s[60:63], 0 offset:224 ; 4-byte Folded Reload
	;; [unrolled: 1-line block ×4, first 2 shown]
	s_waitcnt vmcnt(0)
	ds_write_b128 v16, v[0:3] offset:112
	buffer_load_dword v157, off, s[60:63], 0 offset:40 ; 4-byte Folded Reload
	buffer_load_dword v158, off, s[60:63], 0 offset:44 ; 4-byte Folded Reload
	;; [unrolled: 1-line block ×8, first 2 shown]
	s_waitcnt vmcnt(0)
	ds_write_b128 v16, v[0:3] offset:128
	buffer_load_dword v0, off, s[60:63], 0 offset:140 ; 4-byte Folded Reload
	buffer_load_dword v1, off, s[60:63], 0 offset:144 ; 4-byte Folded Reload
	buffer_load_dword v2, off, s[60:63], 0 offset:148 ; 4-byte Folded Reload
	buffer_load_dword v3, off, s[60:63], 0 offset:152 ; 4-byte Folded Reload
	s_waitcnt vmcnt(0)
	ds_write_b128 v16, v[0:3] offset:144
	buffer_load_dword v0, off, s[60:63], 0 offset:188 ; 4-byte Folded Reload
	buffer_load_dword v1, off, s[60:63], 0 offset:192 ; 4-byte Folded Reload
	buffer_load_dword v2, off, s[60:63], 0 offset:196 ; 4-byte Folded Reload
	buffer_load_dword v3, off, s[60:63], 0 offset:200 ; 4-byte Folded Reload
	;; [unrolled: 6-line block ×4, first 2 shown]
	ds_write_b128 v16, v[164:167] offset:192
	buffer_load_dword v165, off, s[60:63], 0 offset:72 ; 4-byte Folded Reload
	buffer_load_dword v166, off, s[60:63], 0 offset:76 ; 4-byte Folded Reload
	buffer_load_dword v167, off, s[60:63], 0 offset:80 ; 4-byte Folded Reload
	buffer_load_dword v168, off, s[60:63], 0 offset:84 ; 4-byte Folded Reload
	buffer_load_dword v161, off, s[60:63], 0 offset:56 ; 4-byte Folded Reload
	buffer_load_dword v162, off, s[60:63], 0 offset:60 ; 4-byte Folded Reload
	buffer_load_dword v163, off, s[60:63], 0 offset:64 ; 4-byte Folded Reload
	buffer_load_dword v164, off, s[60:63], 0 offset:68 ; 4-byte Folded Reload
	ds_write_b128 v16, v[172:175] offset:208
	buffer_load_dword v170, off, s[60:63], 0 offset:96 ; 4-byte Folded Reload
	buffer_load_dword v171, off, s[60:63], 0 offset:100 ; 4-byte Folded Reload
	;; [unrolled: 1-line block ×4, first 2 shown]
	ds_write_b128 v16, v[144:147] offset:224
	ds_write_b128 v16, v[241:244] offset:240
	;; [unrolled: 1-line block ×3, first 2 shown]
.LBB0_13:
	s_or_b64 exec, exec, s[0:1]
	s_waitcnt lgkmcnt(0)
	; wave barrier
	s_waitcnt lgkmcnt(0)
	ds_read_b128 v[0:3], v245
	ds_read_b128 v[4:7], v245 offset:272
	ds_read_b128 v[80:83], v245 offset:1632
	;; [unrolled: 1-line block ×11, first 2 shown]
	s_waitcnt lgkmcnt(5)
	v_mul_f64 v[16:17], v[26:27], v[98:99]
	v_mul_f64 v[28:29], v[22:23], v[82:83]
	ds_read_b128 v[120:123], v245 offset:2720
	ds_read_b128 v[124:127], v245 offset:2992
	;; [unrolled: 1-line block ×3, first 2 shown]
	s_waitcnt lgkmcnt(4)
	v_mul_f64 v[32:33], v[14:15], v[114:115]
	v_mul_f64 v[18:19], v[26:27], v[96:97]
	;; [unrolled: 1-line block ×5, first 2 shown]
	v_fma_f64 v[16:17], v[24:25], v[96:97], v[16:17]
	v_mul_f64 v[38:39], v[10:11], v[88:89]
	v_fma_f64 v[28:29], v[20:21], v[80:81], v[28:29]
	v_fma_f64 v[32:33], v[12:13], v[112:113], v[32:33]
	v_mul_f64 v[40:41], v[26:27], v[106:107]
	v_mul_f64 v[26:27], v[26:27], v[104:105]
	v_mul_f64 v[42:43], v[22:23], v[86:87]
	v_mul_f64 v[22:23], v[22:23], v[84:85]
	s_waitcnt lgkmcnt(2)
	v_mul_f64 v[44:45], v[14:15], v[122:123]
	v_mul_f64 v[14:15], v[14:15], v[120:121]
	v_mul_f64 v[46:47], v[10:11], v[94:95]
	v_mul_f64 v[10:11], v[10:11], v[92:93]
	v_fma_f64 v[18:19], v[24:25], v[98:99], -v[18:19]
	v_fma_f64 v[30:31], v[20:21], v[82:83], -v[30:31]
	v_fma_f64 v[34:35], v[12:13], v[114:115], -v[34:35]
	v_fma_f64 v[36:37], v[8:9], v[88:89], v[36:37]
	v_fma_f64 v[38:39], v[8:9], v[90:91], -v[38:39]
	v_fma_f64 v[40:41], v[24:25], v[104:105], v[40:41]
	v_fma_f64 v[26:27], v[24:25], v[106:107], -v[26:27]
	v_fma_f64 v[80:81], v[20:21], v[86:87], -v[22:23]
	v_fma_f64 v[44:45], v[12:13], v[120:121], v[44:45]
	v_fma_f64 v[82:83], v[12:13], v[122:123], -v[14:15]
	s_waitcnt vmcnt(8)
	v_mul_f64 v[12:13], v[167:168], v[110:111]
	v_fma_f64 v[24:25], v[8:9], v[92:93], v[46:47]
	v_fma_f64 v[46:47], v[8:9], v[94:95], -v[10:11]
	v_mul_f64 v[8:9], v[167:168], v[108:109]
	s_waitcnt vmcnt(4)
	v_mul_f64 v[10:11], v[163:164], v[118:119]
	v_add_f64 v[14:15], v[0:1], v[16:17]
	v_add_f64 v[22:23], v[28:29], v[32:33]
	v_fma_f64 v[42:43], v[20:21], v[84:85], v[42:43]
	v_mul_f64 v[20:21], v[163:164], v[116:117]
	v_fma_f64 v[86:87], v[165:166], v[108:109], v[12:13]
	s_waitcnt lgkmcnt(1)
	v_mul_f64 v[12:13], v[159:160], v[126:127]
	v_mul_f64 v[84:85], v[159:160], v[124:125]
	v_fma_f64 v[88:89], v[165:166], v[110:111], -v[8:9]
	v_fma_f64 v[90:91], v[161:162], v[116:117], v[10:11]
	v_add_f64 v[8:9], v[14:15], v[28:29]
	v_fma_f64 v[10:11], v[22:23], -0.5, v[0:1]
	v_add_f64 v[14:15], v[18:19], -v[38:39]
	s_mov_b32 s0, 0x134454ff
	s_mov_b32 s1, 0xbfee6f0e
	v_fma_f64 v[92:93], v[161:162], v[118:119], -v[20:21]
	v_fma_f64 v[94:95], v[157:158], v[124:125], v[12:13]
	v_fma_f64 v[96:97], v[157:158], v[126:127], -v[84:85]
	s_waitcnt lgkmcnt(0)
	v_mul_f64 v[12:13], v[155:156], v[130:131]
	v_mul_f64 v[20:21], v[155:156], v[128:129]
	v_fma_f64 v[22:23], v[14:15], s[0:1], v[10:11]
	v_add_f64 v[84:85], v[30:31], -v[34:35]
	v_add_f64 v[98:99], v[16:17], v[36:37]
	v_add_f64 v[104:105], v[16:17], -v[28:29]
	v_add_f64 v[106:107], v[36:37], -v[32:33]
	s_mov_b32 s2, 0x4755a5e
	s_mov_b32 s3, 0xbfe2cf23
	;; [unrolled: 1-line block ×4, first 2 shown]
	v_fma_f64 v[108:109], v[153:154], v[128:129], v[12:13]
	v_fma_f64 v[110:111], v[153:154], v[130:131], -v[20:21]
	v_fma_f64 v[0:1], v[98:99], -0.5, v[0:1]
	v_fma_f64 v[12:13], v[84:85], s[2:3], v[22:23]
	v_add_f64 v[20:21], v[104:105], v[106:107]
	v_add_f64 v[22:23], v[2:3], v[18:19]
	v_fma_f64 v[10:11], v[14:15], s[8:9], v[10:11]
	v_add_f64 v[106:107], v[28:29], -v[16:17]
	v_add_f64 v[112:113], v[32:33], -v[36:37]
	s_mov_b32 s11, 0x3fe2cf23
	s_mov_b32 s10, s2
	v_add_f64 v[8:9], v[8:9], v[32:33]
	v_add_f64 v[98:99], v[30:31], v[34:35]
	v_fma_f64 v[104:105], v[84:85], s[8:9], v[0:1]
	v_fma_f64 v[0:1], v[84:85], s[0:1], v[0:1]
	v_add_f64 v[22:23], v[22:23], v[30:31]
	v_fma_f64 v[10:11], v[84:85], s[10:11], v[10:11]
	v_add_f64 v[84:85], v[106:107], v[112:113]
	v_add_f64 v[106:107], v[18:19], v[38:39]
	;; [unrolled: 1-line block ×3, first 2 shown]
	v_fma_f64 v[98:99], v[98:99], -0.5, v[2:3]
	v_add_f64 v[36:37], v[16:17], -v[36:37]
	v_fma_f64 v[16:17], v[14:15], s[2:3], v[104:105]
	v_fma_f64 v[14:15], v[14:15], s[10:11], v[0:1]
	v_add_f64 v[22:23], v[22:23], v[34:35]
	v_add_f64 v[28:29], v[28:29], -v[32:33]
	v_fma_f64 v[2:3], v[106:107], -0.5, v[2:3]
	s_mov_b32 s16, 0x372fe950
	s_mov_b32 s17, 0x3fd3c6ef
	v_fma_f64 v[104:105], v[36:37], s[8:9], v[98:99]
	v_fma_f64 v[0:1], v[20:21], s[16:17], v[12:13]
	;; [unrolled: 1-line block ×5, first 2 shown]
	v_add_f64 v[10:11], v[22:23], v[38:39]
	v_add_f64 v[22:23], v[18:19], -v[30:31]
	v_add_f64 v[32:33], v[38:39], -v[34:35]
	v_add_f64 v[84:85], v[4:5], v[40:41]
	v_fma_f64 v[98:99], v[36:37], s[0:1], v[98:99]
	v_fma_f64 v[106:107], v[28:29], s[0:1], v[2:3]
	v_add_f64 v[18:19], v[30:31], -v[18:19]
	v_add_f64 v[30:31], v[34:35], -v[38:39]
	v_fma_f64 v[2:3], v[28:29], s[8:9], v[2:3]
	v_fma_f64 v[14:15], v[28:29], s[10:11], v[104:105]
	v_add_f64 v[104:105], v[42:43], v[44:45]
	v_add_f64 v[22:23], v[22:23], v[32:33]
	;; [unrolled: 1-line block ×3, first 2 shown]
	v_fma_f64 v[28:29], v[28:29], s[2:3], v[98:99]
	v_fma_f64 v[84:85], v[36:37], s[10:11], v[106:107]
	v_add_f64 v[30:31], v[18:19], v[30:31]
	v_fma_f64 v[36:37], v[36:37], s[2:3], v[2:3]
	v_add_f64 v[98:99], v[40:41], v[24:25]
	v_fma_f64 v[34:35], v[104:105], -0.5, v[4:5]
	v_add_f64 v[38:39], v[26:27], -v[46:47]
	v_add_f64 v[32:33], v[32:33], v[44:45]
	v_fma_f64 v[2:3], v[22:23], s[16:17], v[14:15]
	v_fma_f64 v[14:15], v[22:23], s[16:17], v[28:29]
	v_add_f64 v[104:105], v[80:81], -v[82:83]
	v_fma_f64 v[18:19], v[30:31], s[16:17], v[84:85]
	v_fma_f64 v[22:23], v[30:31], s[16:17], v[36:37]
	v_fma_f64 v[30:31], v[98:99], -0.5, v[4:5]
	v_fma_f64 v[28:29], v[38:39], s[0:1], v[34:35]
	v_add_f64 v[4:5], v[32:33], v[24:25]
	v_add_f64 v[32:33], v[40:41], -v[42:43]
	v_add_f64 v[36:37], v[24:25], -v[44:45]
	v_fma_f64 v[34:35], v[38:39], s[8:9], v[34:35]
	v_add_f64 v[84:85], v[6:7], v[26:27]
	v_add_f64 v[98:99], v[80:81], v[82:83]
	v_fma_f64 v[106:107], v[104:105], s[8:9], v[30:31]
	v_add_f64 v[112:113], v[42:43], -v[40:41]
	v_add_f64 v[114:115], v[44:45], -v[24:25]
	v_fma_f64 v[30:31], v[104:105], s[0:1], v[30:31]
	v_fma_f64 v[28:29], v[104:105], s[2:3], v[28:29]
	v_add_f64 v[32:33], v[32:33], v[36:37]
	v_fma_f64 v[34:35], v[104:105], s[10:11], v[34:35]
	v_add_f64 v[36:37], v[84:85], v[80:81]
	v_fma_f64 v[84:85], v[98:99], -0.5, v[6:7]
	v_add_f64 v[40:41], v[40:41], -v[24:25]
	v_fma_f64 v[98:99], v[38:39], s[2:3], v[106:107]
	v_add_f64 v[104:105], v[112:113], v[114:115]
	v_fma_f64 v[30:31], v[38:39], s[10:11], v[30:31]
	v_add_f64 v[38:39], v[26:27], v[46:47]
	v_fma_f64 v[24:25], v[32:33], s[16:17], v[28:29]
	v_fma_f64 v[28:29], v[32:33], s[16:17], v[34:35]
	v_add_f64 v[34:35], v[36:37], v[82:83]
	v_fma_f64 v[106:107], v[40:41], s[8:9], v[84:85]
	v_add_f64 v[42:43], v[42:43], -v[44:45]
	v_fma_f64 v[32:33], v[104:105], s[16:17], v[98:99]
	v_fma_f64 v[36:37], v[104:105], s[16:17], v[30:31]
	v_fma_f64 v[30:31], v[38:39], -0.5, v[6:7]
	v_add_f64 v[98:99], v[26:27], -v[80:81]
	v_add_f64 v[112:113], v[46:47], -v[82:83]
	v_add_f64 v[6:7], v[34:35], v[46:47]
	v_add_f64 v[38:39], v[100:101], v[86:87]
	v_fma_f64 v[34:35], v[42:43], s[10:11], v[106:107]
	v_add_f64 v[26:27], v[80:81], -v[26:27]
	v_add_f64 v[46:47], v[82:83], -v[46:47]
	v_fma_f64 v[106:107], v[42:43], s[0:1], v[30:31]
	v_fma_f64 v[30:31], v[42:43], s[8:9], v[30:31]
	;; [unrolled: 1-line block ×3, first 2 shown]
	v_add_f64 v[44:45], v[90:91], v[94:95]
	v_add_f64 v[38:39], v[38:39], v[90:91]
	;; [unrolled: 1-line block ×3, first 2 shown]
	v_add_f64 v[104:105], v[88:89], -v[110:111]
	v_add_f64 v[46:47], v[26:27], v[46:47]
	v_fma_f64 v[106:107], v[40:41], s[10:11], v[106:107]
	v_fma_f64 v[40:41], v[40:41], s[2:3], v[30:31]
	;; [unrolled: 1-line block ×3, first 2 shown]
	v_fma_f64 v[44:45], v[44:45], -0.5, v[100:101]
	v_add_f64 v[112:113], v[86:87], -v[90:91]
	v_add_f64 v[114:115], v[108:109], -v[94:95]
	v_add_f64 v[84:85], v[86:87], v[108:109]
	v_add_f64 v[116:117], v[38:39], v[94:95]
	v_fma_f64 v[26:27], v[98:99], s[16:17], v[34:35]
	v_fma_f64 v[38:39], v[46:47], s[16:17], v[40:41]
	v_add_f64 v[40:41], v[92:93], v[96:97]
	v_fma_f64 v[30:31], v[98:99], s[16:17], v[42:43]
	v_add_f64 v[98:99], v[88:89], v[110:111]
	v_fma_f64 v[80:81], v[104:105], s[0:1], v[44:45]
	v_add_f64 v[82:83], v[92:93], -v[96:97]
	v_add_f64 v[112:113], v[112:113], v[114:115]
	v_fma_f64 v[100:101], v[84:85], -0.5, v[100:101]
	v_fma_f64 v[34:35], v[46:47], s[16:17], v[106:107]
	v_fma_f64 v[42:43], v[104:105], s[8:9], v[44:45]
	v_add_f64 v[46:47], v[90:91], -v[86:87]
	v_add_f64 v[106:107], v[94:95], -v[108:109]
	v_add_f64 v[114:115], v[102:103], v[88:89]
	v_fma_f64 v[40:41], v[40:41], -0.5, v[102:103]
	v_add_f64 v[86:87], v[86:87], -v[108:109]
	v_add_f64 v[90:91], v[90:91], -v[94:95]
	v_fma_f64 v[94:95], v[98:99], -0.5, v[102:103]
	v_fma_f64 v[118:119], v[82:83], s[2:3], v[80:81]
	v_fma_f64 v[44:45], v[82:83], s[8:9], v[100:101]
	;; [unrolled: 1-line block ×3, first 2 shown]
	v_add_f64 v[46:47], v[46:47], v[106:107]
	v_fma_f64 v[82:83], v[82:83], s[0:1], v[100:101]
	v_add_f64 v[98:99], v[114:115], v[92:93]
	v_fma_f64 v[100:101], v[86:87], s[8:9], v[40:41]
	v_add_f64 v[102:103], v[88:89], -v[92:93]
	v_add_f64 v[106:107], v[110:111], -v[96:97]
	v_add_f64 v[80:81], v[116:117], v[108:109]
	v_fma_f64 v[40:41], v[86:87], s[0:1], v[40:41]
	v_fma_f64 v[108:109], v[90:91], s[0:1], v[94:95]
	v_add_f64 v[88:89], v[92:93], -v[88:89]
	v_add_f64 v[92:93], v[96:97], -v[110:111]
	v_fma_f64 v[94:95], v[90:91], s[8:9], v[94:95]
	v_fma_f64 v[82:83], v[104:105], s[10:11], v[82:83]
	v_add_f64 v[98:99], v[98:99], v[96:97]
	v_fma_f64 v[100:101], v[90:91], s[10:11], v[100:101]
	v_add_f64 v[102:103], v[102:103], v[106:107]
	v_fma_f64 v[44:45], v[104:105], s[2:3], v[44:45]
	v_fma_f64 v[40:41], v[90:91], s[2:3], v[40:41]
	v_fma_f64 v[104:105], v[86:87], s[10:11], v[108:109]
	v_add_f64 v[106:107], v[88:89], v[92:93]
	v_fma_f64 v[108:109], v[86:87], s[2:3], v[94:95]
	v_fma_f64 v[84:85], v[112:113], s[16:17], v[118:119]
	;; [unrolled: 4-line block ×3, first 2 shown]
	v_fma_f64 v[92:93], v[46:47], s[16:17], v[44:45]
	v_fma_f64 v[90:91], v[102:103], s[16:17], v[40:41]
	;; [unrolled: 1-line block ×4, first 2 shown]
	s_waitcnt lgkmcnt(0)
	; wave barrier
	ds_write_b128 v245, v[8:11]
	ds_write_b128 v245, v[0:3] offset:272
	ds_write_b128 v245, v[16:19] offset:544
	;; [unrolled: 1-line block ×14, first 2 shown]
	s_waitcnt lgkmcnt(0)
	; wave barrier
	s_waitcnt lgkmcnt(0)
	ds_read_b128 v[0:3], v245 offset:1360
	ds_read_b128 v[4:7], v245
	ds_read_b128 v[8:11], v245 offset:272
	ds_read_b128 v[12:15], v245 offset:2720
	;; [unrolled: 1-line block ×10, first 2 shown]
	s_waitcnt lgkmcnt(11)
	v_mul_f64 v[40:41], v[179:180], v[2:3]
	s_waitcnt vmcnt(0) lgkmcnt(8)
	v_mul_f64 v[44:45], v[172:173], v[14:15]
	v_mul_f64 v[42:43], v[179:180], v[0:1]
	;; [unrolled: 1-line block ×3, first 2 shown]
	s_waitcnt lgkmcnt(6)
	v_mul_f64 v[100:101], v[54:55], v[22:23]
	v_mul_f64 v[54:55], v[54:55], v[20:21]
	ds_read_b128 v[88:91], v245 offset:2176
	ds_read_b128 v[92:95], v245 offset:2448
	;; [unrolled: 1-line block ×3, first 2 shown]
	v_fma_f64 v[40:41], v[177:178], v[0:1], v[40:41]
	v_mul_f64 v[0:1], v[50:51], v[18:19]
	v_fma_f64 v[12:13], v[170:171], v[12:13], v[44:45]
	s_waitcnt lgkmcnt(8)
	v_mul_f64 v[44:45], v[62:63], v[26:27]
	v_fma_f64 v[2:3], v[177:178], v[2:3], -v[42:43]
	v_fma_f64 v[14:15], v[170:171], v[14:15], -v[46:47]
	v_fma_f64 v[20:21], v[52:53], v[20:21], v[100:101]
	v_mul_f64 v[42:43], v[50:51], v[16:17]
	v_fma_f64 v[22:23], v[52:53], v[22:23], -v[54:55]
	v_mul_f64 v[46:47], v[62:63], v[24:25]
	v_fma_f64 v[16:17], v[48:49], v[16:17], v[0:1]
	s_waitcnt lgkmcnt(5)
	v_mul_f64 v[0:1], v[58:59], v[38:39]
	v_mul_f64 v[50:51], v[58:59], v[36:37]
	s_waitcnt lgkmcnt(2)
	v_mul_f64 v[52:53], v[70:71], v[90:91]
	v_fma_f64 v[24:25], v[60:61], v[24:25], v[44:45]
	v_mul_f64 v[44:45], v[66:67], v[82:83]
	v_fma_f64 v[18:19], v[48:49], v[18:19], -v[42:43]
	v_fma_f64 v[26:27], v[60:61], v[26:27], -v[46:47]
	v_add_f64 v[60:61], v[2:3], -v[14:15]
	v_fma_f64 v[36:37], v[56:57], v[36:37], v[0:1]
	v_fma_f64 v[38:39], v[56:57], v[38:39], -v[50:51]
	v_fma_f64 v[46:47], v[68:69], v[88:89], v[52:53]
	v_mul_f64 v[0:1], v[66:67], v[80:81]
	v_add_f64 v[50:51], v[40:41], v[12:13]
	v_fma_f64 v[52:53], v[64:65], v[80:81], v[44:45]
	s_waitcnt lgkmcnt(1)
	v_mul_f64 v[44:45], v[78:79], v[92:93]
	s_waitcnt lgkmcnt(0)
	v_mul_f64 v[56:57], v[74:75], v[96:97]
	s_mov_b32 s0, 0xe8584caa
	s_mov_b32 s1, 0xbfebb67a
	;; [unrolled: 1-line block ×3, first 2 shown]
	v_fma_f64 v[58:59], v[64:65], v[82:83], -v[0:1]
	v_add_f64 v[0:1], v[4:5], v[40:41]
	v_fma_f64 v[50:51], v[50:51], -0.5, v[4:5]
	v_fma_f64 v[62:63], v[76:77], v[94:95], -v[44:45]
	v_fma_f64 v[64:65], v[72:73], v[98:99], -v[56:57]
	v_add_f64 v[44:45], v[2:3], v[14:15]
	v_add_f64 v[56:57], v[20:21], v[16:17]
	s_mov_b32 s2, s0
	v_add_f64 v[2:3], v[6:7], v[2:3]
	v_add_f64 v[0:1], v[0:1], v[12:13]
	v_fma_f64 v[4:5], v[60:61], s[0:1], v[50:51]
	v_add_f64 v[40:41], v[40:41], -v[12:13]
	v_fma_f64 v[12:13], v[60:61], s[2:3], v[50:51]
	v_fma_f64 v[44:45], v[44:45], -0.5, v[6:7]
	v_add_f64 v[50:51], v[8:9], v[20:21]
	v_add_f64 v[60:61], v[22:23], v[18:19]
	v_fma_f64 v[56:57], v[56:57], -0.5, v[8:9]
	v_add_f64 v[66:67], v[22:23], -v[18:19]
	v_mul_f64 v[42:43], v[70:71], v[88:89]
	v_mul_f64 v[48:49], v[78:79], v[94:95]
	;; [unrolled: 1-line block ×3, first 2 shown]
	v_add_f64 v[2:3], v[2:3], v[14:15]
	v_fma_f64 v[6:7], v[40:41], s[2:3], v[44:45]
	v_add_f64 v[22:23], v[10:11], v[22:23]
	v_fma_f64 v[14:15], v[40:41], s[0:1], v[44:45]
	v_add_f64 v[8:9], v[50:51], v[16:17]
	v_add_f64 v[40:41], v[24:25], v[36:37]
	v_fma_f64 v[44:45], v[60:61], -0.5, v[10:11]
	v_add_f64 v[50:51], v[20:21], -v[16:17]
	v_fma_f64 v[16:17], v[66:67], s[0:1], v[56:57]
	v_fma_f64 v[20:21], v[66:67], s[2:3], v[56:57]
	v_add_f64 v[56:57], v[26:27], v[38:39]
	v_fma_f64 v[42:43], v[68:69], v[90:91], -v[42:43]
	v_fma_f64 v[48:49], v[76:77], v[92:93], v[48:49]
	v_fma_f64 v[54:55], v[72:73], v[96:97], v[54:55]
	v_add_f64 v[10:11], v[22:23], v[18:19]
	v_add_f64 v[60:61], v[28:29], v[24:25]
	v_fma_f64 v[40:41], v[40:41], -0.5, v[28:29]
	v_add_f64 v[66:67], v[26:27], -v[38:39]
	v_fma_f64 v[18:19], v[50:51], s[2:3], v[44:45]
	v_add_f64 v[68:69], v[46:47], v[52:53]
	v_fma_f64 v[22:23], v[50:51], s[0:1], v[44:45]
	v_add_f64 v[26:27], v[30:31], v[26:27]
	v_fma_f64 v[44:45], v[56:57], -0.5, v[30:31]
	v_add_f64 v[50:51], v[24:25], -v[36:37]
	v_add_f64 v[56:57], v[32:33], v[46:47]
	v_add_f64 v[24:25], v[60:61], v[36:37]
	v_fma_f64 v[28:29], v[66:67], s[0:1], v[40:41]
	v_fma_f64 v[60:61], v[68:69], -0.5, v[32:33]
	v_add_f64 v[68:69], v[42:43], -v[58:59]
	v_fma_f64 v[36:37], v[66:67], s[2:3], v[40:41]
	v_add_f64 v[26:27], v[26:27], v[38:39]
	v_fma_f64 v[30:31], v[50:51], s[2:3], v[44:45]
	v_add_f64 v[66:67], v[42:43], v[58:59]
	;; [unrolled: 2-line block ×3, first 2 shown]
	v_add_f64 v[50:51], v[48:49], v[54:55]
	v_add_f64 v[56:57], v[62:63], v[64:65]
	v_fma_f64 v[40:41], v[68:69], s[0:1], v[60:61]
	v_fma_f64 v[44:45], v[68:69], s[2:3], v[60:61]
	v_add_f64 v[42:43], v[34:35], v[42:43]
	v_fma_f64 v[60:61], v[66:67], -0.5, v[34:35]
	v_add_f64 v[46:47], v[46:47], -v[52:53]
	v_add_f64 v[52:53], v[84:85], v[48:49]
	v_fma_f64 v[50:51], v[50:51], -0.5, v[84:85]
	v_add_f64 v[66:67], v[62:63], -v[64:65]
	;; [unrolled: 3-line block ×3, first 2 shown]
	v_add_f64 v[34:35], v[42:43], v[58:59]
	v_fma_f64 v[42:43], v[46:47], s[2:3], v[60:61]
	v_fma_f64 v[46:47], v[46:47], s[0:1], v[60:61]
	v_add_f64 v[48:49], v[52:53], v[54:55]
	v_fma_f64 v[52:53], v[66:67], s[0:1], v[50:51]
	v_fma_f64 v[56:57], v[66:67], s[2:3], v[50:51]
	;; [unrolled: 3-line block ×3, first 2 shown]
	ds_write_b128 v247, v[0:3]
	ds_write_b128 v247, v[4:7] offset:1360
	ds_write_b128 v247, v[12:15] offset:2720
	;; [unrolled: 1-line block ×14, first 2 shown]
	s_waitcnt lgkmcnt(0)
	; wave barrier
	s_waitcnt lgkmcnt(0)
	s_and_b64 exec, exec, vcc
	s_cbranch_execz .LBB0_15
; %bb.14:
	buffer_load_dword v2, off, s[60:63], 0 offset:16 ; 4-byte Folded Reload
	global_load_dwordx4 v[3:6], v248, s[12:13]
	ds_read_b128 v[7:10], v247
	v_mad_u64_u32 v[0:1], s[0:1], s6, v176, 0
	v_mad_u64_u32 v[15:16], s[0:1], s4, v246, 0
	s_mul_i32 s3, s5, 0xf0
	s_mul_hi_u32 s6, s4, 0xf0
	s_mul_i32 s2, s4, 0xf0
	s_add_i32 s3, s6, s3
	s_waitcnt vmcnt(1)
	v_lshl_add_u32 v2, v2, 4, v248
	ds_read_b128 v[11:14], v2 offset:240
	s_waitcnt vmcnt(0) lgkmcnt(1)
	v_mul_f64 v[17:18], v[9:10], v[5:6]
	v_mul_f64 v[5:6], v[7:8], v[5:6]
	v_mad_u64_u32 v[19:20], s[0:1], s7, v176, v[1:2]
	v_mov_b32_e32 v1, v19
	v_lshlrev_b64 v[0:1], 4, v[0:1]
	v_fma_f64 v[7:8], v[7:8], v[3:4], v[17:18]
	v_fma_f64 v[5:6], v[3:4], v[9:10], -v[5:6]
	v_mad_u64_u32 v[20:21], s[0:1], s5, v246, v[16:17]
	s_mov_b32 s0, 0x10101010
	s_mov_b32 s1, 0x3f701010
	v_mov_b32_e32 v16, v20
	v_mov_b32_e32 v17, s15
	v_mul_f64 v[3:4], v[7:8], s[0:1]
	v_mul_f64 v[5:6], v[5:6], s[0:1]
	v_lshlrev_b64 v[9:10], 4, v[15:16]
	v_add_co_u32_e32 v0, vcc, s14, v0
	v_addc_co_u32_e32 v1, vcc, v17, v1, vcc
	v_add_co_u32_e32 v7, vcc, v0, v9
	v_addc_co_u32_e32 v8, vcc, v1, v10, vcc
	global_store_dwordx4 v[7:8], v[3:6], off
	global_load_dwordx4 v[3:6], v248, s[12:13] offset:240
	v_add_co_u32_e32 v15, vcc, s2, v7
	s_waitcnt vmcnt(0) lgkmcnt(0)
	v_mul_f64 v[9:10], v[13:14], v[5:6]
	v_mul_f64 v[5:6], v[11:12], v[5:6]
	v_fma_f64 v[9:10], v[11:12], v[3:4], v[9:10]
	v_fma_f64 v[5:6], v[3:4], v[13:14], -v[5:6]
	v_mul_f64 v[3:4], v[9:10], s[0:1]
	v_mul_f64 v[5:6], v[5:6], s[0:1]
	v_mov_b32_e32 v9, s3
	v_addc_co_u32_e32 v16, vcc, v8, v9, vcc
	global_store_dwordx4 v[15:16], v[3:6], off
	global_load_dwordx4 v[3:6], v248, s[12:13] offset:480
	ds_read_b128 v[7:10], v2 offset:480
	ds_read_b128 v[11:14], v2 offset:720
	s_waitcnt vmcnt(0) lgkmcnt(1)
	v_mul_f64 v[17:18], v[9:10], v[5:6]
	v_mul_f64 v[5:6], v[7:8], v[5:6]
	v_fma_f64 v[7:8], v[7:8], v[3:4], v[17:18]
	v_fma_f64 v[5:6], v[3:4], v[9:10], -v[5:6]
	v_mul_f64 v[3:4], v[7:8], s[0:1]
	v_mul_f64 v[5:6], v[5:6], s[0:1]
	v_mov_b32_e32 v8, s3
	v_add_co_u32_e32 v7, vcc, s2, v15
	v_addc_co_u32_e32 v8, vcc, v16, v8, vcc
	v_add_co_u32_e32 v15, vcc, s2, v7
	global_store_dwordx4 v[7:8], v[3:6], off
	global_load_dwordx4 v[3:6], v248, s[12:13] offset:720
	s_waitcnt vmcnt(0) lgkmcnt(0)
	v_mul_f64 v[9:10], v[13:14], v[5:6]
	v_mul_f64 v[5:6], v[11:12], v[5:6]
	v_fma_f64 v[9:10], v[11:12], v[3:4], v[9:10]
	v_fma_f64 v[5:6], v[3:4], v[13:14], -v[5:6]
	v_mul_f64 v[3:4], v[9:10], s[0:1]
	v_mul_f64 v[5:6], v[5:6], s[0:1]
	v_mov_b32_e32 v9, s3
	v_addc_co_u32_e32 v16, vcc, v8, v9, vcc
	global_store_dwordx4 v[15:16], v[3:6], off
	global_load_dwordx4 v[3:6], v248, s[12:13] offset:960
	ds_read_b128 v[7:10], v2 offset:960
	ds_read_b128 v[11:14], v2 offset:1200
	s_waitcnt vmcnt(0) lgkmcnt(1)
	v_mul_f64 v[17:18], v[9:10], v[5:6]
	v_mul_f64 v[5:6], v[7:8], v[5:6]
	v_fma_f64 v[7:8], v[7:8], v[3:4], v[17:18]
	v_fma_f64 v[5:6], v[3:4], v[9:10], -v[5:6]
	v_mul_f64 v[3:4], v[7:8], s[0:1]
	v_mul_f64 v[5:6], v[5:6], s[0:1]
	v_mov_b32_e32 v8, s3
	v_add_co_u32_e32 v7, vcc, s2, v15
	v_addc_co_u32_e32 v8, vcc, v16, v8, vcc
	v_add_co_u32_e32 v15, vcc, s2, v7
	global_store_dwordx4 v[7:8], v[3:6], off
	global_load_dwordx4 v[3:6], v248, s[12:13] offset:1200
	s_waitcnt vmcnt(0) lgkmcnt(0)
	v_mul_f64 v[9:10], v[13:14], v[5:6]
	v_mul_f64 v[5:6], v[11:12], v[5:6]
	v_fma_f64 v[9:10], v[11:12], v[3:4], v[9:10]
	v_fma_f64 v[5:6], v[3:4], v[13:14], -v[5:6]
	v_mul_f64 v[3:4], v[9:10], s[0:1]
	v_mul_f64 v[5:6], v[5:6], s[0:1]
	v_mov_b32_e32 v9, s3
	v_addc_co_u32_e32 v16, vcc, v8, v9, vcc
	global_store_dwordx4 v[15:16], v[3:6], off
	global_load_dwordx4 v[3:6], v248, s[12:13] offset:1440
	ds_read_b128 v[7:10], v2 offset:1440
	ds_read_b128 v[11:14], v2 offset:1680
	s_waitcnt vmcnt(0) lgkmcnt(1)
	v_mul_f64 v[17:18], v[9:10], v[5:6]
	v_mul_f64 v[5:6], v[7:8], v[5:6]
	v_fma_f64 v[7:8], v[7:8], v[3:4], v[17:18]
	v_fma_f64 v[5:6], v[3:4], v[9:10], -v[5:6]
	v_mul_f64 v[3:4], v[7:8], s[0:1]
	v_mul_f64 v[5:6], v[5:6], s[0:1]
	v_mov_b32_e32 v8, s3
	v_add_co_u32_e32 v7, vcc, s2, v15
	v_addc_co_u32_e32 v8, vcc, v16, v8, vcc
	v_add_co_u32_e32 v15, vcc, s2, v7
	global_store_dwordx4 v[7:8], v[3:6], off
	global_load_dwordx4 v[3:6], v248, s[12:13] offset:1680
	s_waitcnt vmcnt(0) lgkmcnt(0)
	v_mul_f64 v[9:10], v[13:14], v[5:6]
	v_mul_f64 v[5:6], v[11:12], v[5:6]
	v_fma_f64 v[9:10], v[11:12], v[3:4], v[9:10]
	v_fma_f64 v[5:6], v[3:4], v[13:14], -v[5:6]
	v_mul_f64 v[3:4], v[9:10], s[0:1]
	v_mul_f64 v[5:6], v[5:6], s[0:1]
	v_mov_b32_e32 v9, s3
	v_addc_co_u32_e32 v16, vcc, v8, v9, vcc
	global_store_dwordx4 v[15:16], v[3:6], off
	global_load_dwordx4 v[3:6], v248, s[12:13] offset:1920
	ds_read_b128 v[7:10], v2 offset:1920
	ds_read_b128 v[11:14], v2 offset:2160
	s_waitcnt vmcnt(0) lgkmcnt(1)
	v_mul_f64 v[17:18], v[9:10], v[5:6]
	v_mul_f64 v[5:6], v[7:8], v[5:6]
	v_fma_f64 v[7:8], v[7:8], v[3:4], v[17:18]
	v_fma_f64 v[5:6], v[3:4], v[9:10], -v[5:6]
	v_mul_f64 v[3:4], v[7:8], s[0:1]
	v_mul_f64 v[5:6], v[5:6], s[0:1]
	v_mov_b32_e32 v8, s3
	v_add_co_u32_e32 v7, vcc, s2, v15
	v_addc_co_u32_e32 v8, vcc, v16, v8, vcc
	v_add_co_u32_e32 v15, vcc, s2, v7
	global_store_dwordx4 v[7:8], v[3:6], off
	global_load_dwordx4 v[3:6], v248, s[12:13] offset:2160
	s_waitcnt vmcnt(0) lgkmcnt(0)
	v_mul_f64 v[9:10], v[13:14], v[5:6]
	v_mul_f64 v[5:6], v[11:12], v[5:6]
	v_fma_f64 v[9:10], v[11:12], v[3:4], v[9:10]
	v_fma_f64 v[5:6], v[3:4], v[13:14], -v[5:6]
	v_mul_f64 v[3:4], v[9:10], s[0:1]
	v_mul_f64 v[5:6], v[5:6], s[0:1]
	v_mov_b32_e32 v9, s3
	v_addc_co_u32_e32 v16, vcc, v8, v9, vcc
	global_store_dwordx4 v[15:16], v[3:6], off
	global_load_dwordx4 v[3:6], v248, s[12:13] offset:2400
	ds_read_b128 v[7:10], v2 offset:2400
	ds_read_b128 v[11:14], v2 offset:2640
	s_waitcnt vmcnt(0) lgkmcnt(1)
	v_mul_f64 v[17:18], v[9:10], v[5:6]
	v_mul_f64 v[5:6], v[7:8], v[5:6]
	v_fma_f64 v[7:8], v[7:8], v[3:4], v[17:18]
	v_fma_f64 v[5:6], v[3:4], v[9:10], -v[5:6]
	v_mul_f64 v[3:4], v[7:8], s[0:1]
	v_mul_f64 v[5:6], v[5:6], s[0:1]
	v_mov_b32_e32 v8, s3
	v_add_co_u32_e32 v7, vcc, s2, v15
	v_addc_co_u32_e32 v8, vcc, v16, v8, vcc
	v_add_co_u32_e32 v15, vcc, s2, v7
	global_store_dwordx4 v[7:8], v[3:6], off
	global_load_dwordx4 v[3:6], v248, s[12:13] offset:2640
	s_waitcnt vmcnt(0) lgkmcnt(0)
	v_mul_f64 v[9:10], v[13:14], v[5:6]
	v_mul_f64 v[5:6], v[11:12], v[5:6]
	v_fma_f64 v[9:10], v[11:12], v[3:4], v[9:10]
	v_fma_f64 v[5:6], v[3:4], v[13:14], -v[5:6]
	v_mul_f64 v[3:4], v[9:10], s[0:1]
	v_mul_f64 v[5:6], v[5:6], s[0:1]
	v_mov_b32_e32 v9, s3
	v_addc_co_u32_e32 v16, vcc, v8, v9, vcc
	global_store_dwordx4 v[15:16], v[3:6], off
	global_load_dwordx4 v[3:6], v248, s[12:13] offset:2880
	ds_read_b128 v[7:10], v2 offset:2880
	ds_read_b128 v[11:14], v2 offset:3120
	s_waitcnt vmcnt(0) lgkmcnt(1)
	v_mul_f64 v[17:18], v[9:10], v[5:6]
	v_mul_f64 v[5:6], v[7:8], v[5:6]
	v_fma_f64 v[7:8], v[7:8], v[3:4], v[17:18]
	v_fma_f64 v[5:6], v[3:4], v[9:10], -v[5:6]
	v_mul_f64 v[3:4], v[7:8], s[0:1]
	v_mul_f64 v[5:6], v[5:6], s[0:1]
	v_mov_b32_e32 v8, s3
	v_add_co_u32_e32 v7, vcc, s2, v15
	v_addc_co_u32_e32 v8, vcc, v16, v8, vcc
	v_add_co_u32_e32 v15, vcc, s2, v7
	global_store_dwordx4 v[7:8], v[3:6], off
	global_load_dwordx4 v[3:6], v248, s[12:13] offset:3120
	s_waitcnt vmcnt(0) lgkmcnt(0)
	v_mul_f64 v[9:10], v[13:14], v[5:6]
	v_mul_f64 v[5:6], v[11:12], v[5:6]
	v_fma_f64 v[9:10], v[11:12], v[3:4], v[9:10]
	v_fma_f64 v[5:6], v[3:4], v[13:14], -v[5:6]
	v_mul_f64 v[3:4], v[9:10], s[0:1]
	v_mul_f64 v[5:6], v[5:6], s[0:1]
	v_mov_b32_e32 v9, s3
	v_addc_co_u32_e32 v16, vcc, v8, v9, vcc
	global_store_dwordx4 v[15:16], v[3:6], off
	global_load_dwordx4 v[3:6], v248, s[12:13] offset:3360
	ds_read_b128 v[7:10], v2 offset:3360
	ds_read_b128 v[11:14], v2 offset:3600
	s_waitcnt vmcnt(0) lgkmcnt(1)
	v_mul_f64 v[17:18], v[9:10], v[5:6]
	v_mul_f64 v[5:6], v[7:8], v[5:6]
	v_fma_f64 v[7:8], v[7:8], v[3:4], v[17:18]
	v_fma_f64 v[5:6], v[3:4], v[9:10], -v[5:6]
	v_mul_f64 v[3:4], v[7:8], s[0:1]
	v_mul_f64 v[5:6], v[5:6], s[0:1]
	v_mov_b32_e32 v8, s3
	v_add_co_u32_e32 v7, vcc, s2, v15
	v_addc_co_u32_e32 v8, vcc, v16, v8, vcc
	global_store_dwordx4 v[7:8], v[3:6], off
	global_load_dwordx4 v[3:6], v248, s[12:13] offset:3600
	v_add_co_u32_e32 v7, vcc, s2, v7
	s_waitcnt vmcnt(0) lgkmcnt(0)
	v_mul_f64 v[9:10], v[13:14], v[5:6]
	v_mul_f64 v[5:6], v[11:12], v[5:6]
	v_fma_f64 v[9:10], v[11:12], v[3:4], v[9:10]
	v_fma_f64 v[5:6], v[3:4], v[13:14], -v[5:6]
	v_or_b32_e32 v13, 0xf0, v246
	v_mul_f64 v[3:4], v[9:10], s[0:1]
	v_mul_f64 v[5:6], v[5:6], s[0:1]
	v_mov_b32_e32 v9, s3
	v_addc_co_u32_e32 v8, vcc, v8, v9, vcc
	global_store_dwordx4 v[7:8], v[3:6], off
	global_load_dwordx4 v[3:6], v248, s[12:13] offset:3840
	ds_read_b128 v[7:10], v2 offset:3840
	s_waitcnt vmcnt(0) lgkmcnt(0)
	v_mul_f64 v[11:12], v[9:10], v[5:6]
	v_mul_f64 v[5:6], v[7:8], v[5:6]
	v_fma_f64 v[7:8], v[7:8], v[3:4], v[11:12]
	v_fma_f64 v[4:5], v[3:4], v[9:10], -v[5:6]
	v_mad_u64_u32 v[9:10], s[2:3], s4, v13, 0
	v_mov_b32_e32 v2, v10
	v_mad_u64_u32 v[10:11], s[2:3], s5, v13, v[2:3]
	v_mul_f64 v[2:3], v[7:8], s[0:1]
	v_mul_f64 v[4:5], v[4:5], s[0:1]
	v_lshlrev_b64 v[6:7], 4, v[9:10]
	v_add_co_u32_e32 v0, vcc, v0, v6
	v_addc_co_u32_e32 v1, vcc, v1, v7, vcc
	global_store_dwordx4 v[0:1], v[2:5], off
.LBB0_15:
	s_endpgm
	.section	.rodata,"a",@progbits
	.p2align	6, 0x0
	.amdhsa_kernel bluestein_single_back_len255_dim1_dp_op_CI_CI
		.amdhsa_group_segment_fixed_size 12240
		.amdhsa_private_segment_fixed_size 256
		.amdhsa_kernarg_size 104
		.amdhsa_user_sgpr_count 6
		.amdhsa_user_sgpr_private_segment_buffer 1
		.amdhsa_user_sgpr_dispatch_ptr 0
		.amdhsa_user_sgpr_queue_ptr 0
		.amdhsa_user_sgpr_kernarg_segment_ptr 1
		.amdhsa_user_sgpr_dispatch_id 0
		.amdhsa_user_sgpr_flat_scratch_init 0
		.amdhsa_user_sgpr_private_segment_size 0
		.amdhsa_uses_dynamic_stack 0
		.amdhsa_system_sgpr_private_segment_wavefront_offset 1
		.amdhsa_system_sgpr_workgroup_id_x 1
		.amdhsa_system_sgpr_workgroup_id_y 0
		.amdhsa_system_sgpr_workgroup_id_z 0
		.amdhsa_system_sgpr_workgroup_info 0
		.amdhsa_system_vgpr_workitem_id 0
		.amdhsa_next_free_vgpr 256
		.amdhsa_next_free_sgpr 64
		.amdhsa_reserve_vcc 1
		.amdhsa_reserve_flat_scratch 0
		.amdhsa_float_round_mode_32 0
		.amdhsa_float_round_mode_16_64 0
		.amdhsa_float_denorm_mode_32 3
		.amdhsa_float_denorm_mode_16_64 3
		.amdhsa_dx10_clamp 1
		.amdhsa_ieee_mode 1
		.amdhsa_fp16_overflow 0
		.amdhsa_exception_fp_ieee_invalid_op 0
		.amdhsa_exception_fp_denorm_src 0
		.amdhsa_exception_fp_ieee_div_zero 0
		.amdhsa_exception_fp_ieee_overflow 0
		.amdhsa_exception_fp_ieee_underflow 0
		.amdhsa_exception_fp_ieee_inexact 0
		.amdhsa_exception_int_div_zero 0
	.end_amdhsa_kernel
	.text
.Lfunc_end0:
	.size	bluestein_single_back_len255_dim1_dp_op_CI_CI, .Lfunc_end0-bluestein_single_back_len255_dim1_dp_op_CI_CI
                                        ; -- End function
	.section	.AMDGPU.csdata,"",@progbits
; Kernel info:
; codeLenInByte = 25824
; NumSgprs: 68
; NumVgprs: 256
; ScratchSize: 256
; MemoryBound: 0
; FloatMode: 240
; IeeeMode: 1
; LDSByteSize: 12240 bytes/workgroup (compile time only)
; SGPRBlocks: 8
; VGPRBlocks: 63
; NumSGPRsForWavesPerEU: 68
; NumVGPRsForWavesPerEU: 256
; Occupancy: 1
; WaveLimiterHint : 1
; COMPUTE_PGM_RSRC2:SCRATCH_EN: 1
; COMPUTE_PGM_RSRC2:USER_SGPR: 6
; COMPUTE_PGM_RSRC2:TRAP_HANDLER: 0
; COMPUTE_PGM_RSRC2:TGID_X_EN: 1
; COMPUTE_PGM_RSRC2:TGID_Y_EN: 0
; COMPUTE_PGM_RSRC2:TGID_Z_EN: 0
; COMPUTE_PGM_RSRC2:TIDIG_COMP_CNT: 0
	.type	__hip_cuid_14dd389dd03f7459,@object ; @__hip_cuid_14dd389dd03f7459
	.section	.bss,"aw",@nobits
	.globl	__hip_cuid_14dd389dd03f7459
__hip_cuid_14dd389dd03f7459:
	.byte	0                               ; 0x0
	.size	__hip_cuid_14dd389dd03f7459, 1

	.ident	"AMD clang version 19.0.0git (https://github.com/RadeonOpenCompute/llvm-project roc-6.4.0 25133 c7fe45cf4b819c5991fe208aaa96edf142730f1d)"
	.section	".note.GNU-stack","",@progbits
	.addrsig
	.addrsig_sym __hip_cuid_14dd389dd03f7459
	.amdgpu_metadata
---
amdhsa.kernels:
  - .args:
      - .actual_access:  read_only
        .address_space:  global
        .offset:         0
        .size:           8
        .value_kind:     global_buffer
      - .actual_access:  read_only
        .address_space:  global
        .offset:         8
        .size:           8
        .value_kind:     global_buffer
      - .actual_access:  read_only
        .address_space:  global
        .offset:         16
        .size:           8
        .value_kind:     global_buffer
      - .actual_access:  read_only
        .address_space:  global
        .offset:         24
        .size:           8
        .value_kind:     global_buffer
      - .actual_access:  read_only
        .address_space:  global
        .offset:         32
        .size:           8
        .value_kind:     global_buffer
      - .offset:         40
        .size:           8
        .value_kind:     by_value
      - .address_space:  global
        .offset:         48
        .size:           8
        .value_kind:     global_buffer
      - .address_space:  global
        .offset:         56
        .size:           8
        .value_kind:     global_buffer
      - .address_space:  global
        .offset:         64
        .size:           8
        .value_kind:     global_buffer
      - .address_space:  global
        .offset:         72
        .size:           8
        .value_kind:     global_buffer
      - .offset:         80
        .size:           4
        .value_kind:     by_value
      - .address_space:  global
        .offset:         88
        .size:           8
        .value_kind:     global_buffer
      - .address_space:  global
        .offset:         96
        .size:           8
        .value_kind:     global_buffer
    .group_segment_fixed_size: 12240
    .kernarg_segment_align: 8
    .kernarg_segment_size: 104
    .language:       OpenCL C
    .language_version:
      - 2
      - 0
    .max_flat_workgroup_size: 51
    .name:           bluestein_single_back_len255_dim1_dp_op_CI_CI
    .private_segment_fixed_size: 256
    .sgpr_count:     68
    .sgpr_spill_count: 0
    .symbol:         bluestein_single_back_len255_dim1_dp_op_CI_CI.kd
    .uniform_work_group_size: 1
    .uses_dynamic_stack: false
    .vgpr_count:     256
    .vgpr_spill_count: 79
    .wavefront_size: 64
amdhsa.target:   amdgcn-amd-amdhsa--gfx906
amdhsa.version:
  - 1
  - 2
...

	.end_amdgpu_metadata
